;; amdgpu-corpus repo=ROCm/rocSPARSE kind=compiled arch=gfx90a opt=O3
	.text
	.amdgcn_target "amdgcn-amd-amdhsa--gfx90a"
	.amdhsa_code_object_version 6
	.section	.text._ZN9rocsparseL24sddmm_coox_sample_kernelILi512ELb0EDF16_iiDF16_EEvT3_S1_T2_PKT4_S1_PS3_PKS2_S8_21rocsparse_index_base_,"axG",@progbits,_ZN9rocsparseL24sddmm_coox_sample_kernelILi512ELb0EDF16_iiDF16_EEvT3_S1_T2_PKT4_S1_PS3_PKS2_S8_21rocsparse_index_base_,comdat
	.globl	_ZN9rocsparseL24sddmm_coox_sample_kernelILi512ELb0EDF16_iiDF16_EEvT3_S1_T2_PKT4_S1_PS3_PKS2_S8_21rocsparse_index_base_ ; -- Begin function _ZN9rocsparseL24sddmm_coox_sample_kernelILi512ELb0EDF16_iiDF16_EEvT3_S1_T2_PKT4_S1_PS3_PKS2_S8_21rocsparse_index_base_
	.p2align	8
	.type	_ZN9rocsparseL24sddmm_coox_sample_kernelILi512ELb0EDF16_iiDF16_EEvT3_S1_T2_PKT4_S1_PS3_PKS2_S8_21rocsparse_index_base_,@function
_ZN9rocsparseL24sddmm_coox_sample_kernelILi512ELb0EDF16_iiDF16_EEvT3_S1_T2_PKT4_S1_PS3_PKS2_S8_21rocsparse_index_base_: ; @_ZN9rocsparseL24sddmm_coox_sample_kernelILi512ELb0EDF16_iiDF16_EEvT3_S1_T2_PKT4_S1_PS3_PKS2_S8_21rocsparse_index_base_
; %bb.0:
	s_load_dword s10, s[4:5], 0x8
	v_lshl_or_b32 v0, s6, 9, v0
	s_waitcnt lgkmcnt(0)
	v_cmp_gt_u32_e32 vcc, s10, v0
	s_and_saveexec_b64 s[0:1], vcc
	s_cbranch_execz .LBB0_3
; %bb.1:
	s_load_dword s11, s[4:5], 0x38
	s_load_dword s13, s[4:5], 0x40
	s_load_dwordx4 s[0:3], s[4:5], 0x20
	s_load_dwordx2 s[6:7], s[4:5], 0x30
	s_load_dwordx2 s[8:9], s[4:5], 0x10
	s_load_dword s12, s[4:5], 0x18
	s_waitcnt lgkmcnt(0)
	s_lshl_b32 s13, s13, 9
	s_mov_b64 s[4:5], 0
	v_mov_b32_e32 v1, 0
	v_mov_b32_e32 v2, s3
	;; [unrolled: 1-line block ×5, first 2 shown]
.LBB0_2:                                ; =>This Inner Loop Header: Depth=1
	v_lshlrev_b64 v[6:7], 2, v[0:1]
	v_add_co_u32_e32 v8, vcc, s2, v6
	v_addc_co_u32_e32 v9, vcc, v2, v7, vcc
	v_add_co_u32_e32 v6, vcc, s6, v6
	v_addc_co_u32_e32 v7, vcc, v3, v7, vcc
	global_load_dword v10, v[8:9], off
	global_load_dword v11, v[6:7], off
	s_waitcnt vmcnt(1)
	v_subrev_u32_e32 v6, s11, v10
	s_waitcnt vmcnt(0)
	v_subrev_u32_e32 v7, s11, v11
	v_mad_u64_u32 v[6:7], s[14:15], v7, s12, v[6:7]
	v_ashrrev_i32_e32 v7, 31, v6
	v_lshlrev_b64 v[6:7], 1, v[6:7]
	v_add_co_u32_e32 v6, vcc, s8, v6
	v_addc_co_u32_e32 v7, vcc, v4, v7, vcc
	global_load_ushort v8, v[6:7], off
	v_lshlrev_b64 v[6:7], 1, v[0:1]
	v_add_co_u32_e32 v6, vcc, s0, v6
	v_add_u32_e32 v0, s13, v0
	v_addc_co_u32_e32 v7, vcc, v5, v7, vcc
	v_cmp_le_u32_e32 vcc, s10, v0
	s_or_b64 s[4:5], vcc, s[4:5]
	s_waitcnt vmcnt(0)
	global_store_short v[6:7], v8, off
	s_andn2_b64 exec, exec, s[4:5]
	s_cbranch_execnz .LBB0_2
.LBB0_3:
	s_endpgm
	.section	.rodata,"a",@progbits
	.p2align	6, 0x0
	.amdhsa_kernel _ZN9rocsparseL24sddmm_coox_sample_kernelILi512ELb0EDF16_iiDF16_EEvT3_S1_T2_PKT4_S1_PS3_PKS2_S8_21rocsparse_index_base_
		.amdhsa_group_segment_fixed_size 0
		.amdhsa_private_segment_fixed_size 0
		.amdhsa_kernarg_size 320
		.amdhsa_user_sgpr_count 6
		.amdhsa_user_sgpr_private_segment_buffer 1
		.amdhsa_user_sgpr_dispatch_ptr 0
		.amdhsa_user_sgpr_queue_ptr 0
		.amdhsa_user_sgpr_kernarg_segment_ptr 1
		.amdhsa_user_sgpr_dispatch_id 0
		.amdhsa_user_sgpr_flat_scratch_init 0
		.amdhsa_user_sgpr_kernarg_preload_length 0
		.amdhsa_user_sgpr_kernarg_preload_offset 0
		.amdhsa_user_sgpr_private_segment_size 0
		.amdhsa_uses_dynamic_stack 0
		.amdhsa_system_sgpr_private_segment_wavefront_offset 0
		.amdhsa_system_sgpr_workgroup_id_x 1
		.amdhsa_system_sgpr_workgroup_id_y 0
		.amdhsa_system_sgpr_workgroup_id_z 0
		.amdhsa_system_sgpr_workgroup_info 0
		.amdhsa_system_vgpr_workitem_id 0
		.amdhsa_next_free_vgpr 12
		.amdhsa_next_free_sgpr 16
		.amdhsa_accum_offset 12
		.amdhsa_reserve_vcc 1
		.amdhsa_reserve_flat_scratch 0
		.amdhsa_float_round_mode_32 0
		.amdhsa_float_round_mode_16_64 0
		.amdhsa_float_denorm_mode_32 3
		.amdhsa_float_denorm_mode_16_64 3
		.amdhsa_dx10_clamp 1
		.amdhsa_ieee_mode 1
		.amdhsa_fp16_overflow 0
		.amdhsa_tg_split 0
		.amdhsa_exception_fp_ieee_invalid_op 0
		.amdhsa_exception_fp_denorm_src 0
		.amdhsa_exception_fp_ieee_div_zero 0
		.amdhsa_exception_fp_ieee_overflow 0
		.amdhsa_exception_fp_ieee_underflow 0
		.amdhsa_exception_fp_ieee_inexact 0
		.amdhsa_exception_int_div_zero 0
	.end_amdhsa_kernel
	.section	.text._ZN9rocsparseL24sddmm_coox_sample_kernelILi512ELb0EDF16_iiDF16_EEvT3_S1_T2_PKT4_S1_PS3_PKS2_S8_21rocsparse_index_base_,"axG",@progbits,_ZN9rocsparseL24sddmm_coox_sample_kernelILi512ELb0EDF16_iiDF16_EEvT3_S1_T2_PKT4_S1_PS3_PKS2_S8_21rocsparse_index_base_,comdat
.Lfunc_end0:
	.size	_ZN9rocsparseL24sddmm_coox_sample_kernelILi512ELb0EDF16_iiDF16_EEvT3_S1_T2_PKT4_S1_PS3_PKS2_S8_21rocsparse_index_base_, .Lfunc_end0-_ZN9rocsparseL24sddmm_coox_sample_kernelILi512ELb0EDF16_iiDF16_EEvT3_S1_T2_PKT4_S1_PS3_PKS2_S8_21rocsparse_index_base_
                                        ; -- End function
	.section	.AMDGPU.csdata,"",@progbits
; Kernel info:
; codeLenInByte = 256
; NumSgprs: 20
; NumVgprs: 12
; NumAgprs: 0
; TotalNumVgprs: 12
; ScratchSize: 0
; MemoryBound: 0
; FloatMode: 240
; IeeeMode: 1
; LDSByteSize: 0 bytes/workgroup (compile time only)
; SGPRBlocks: 2
; VGPRBlocks: 1
; NumSGPRsForWavesPerEU: 20
; NumVGPRsForWavesPerEU: 12
; AccumOffset: 12
; Occupancy: 8
; WaveLimiterHint : 1
; COMPUTE_PGM_RSRC2:SCRATCH_EN: 0
; COMPUTE_PGM_RSRC2:USER_SGPR: 6
; COMPUTE_PGM_RSRC2:TRAP_HANDLER: 0
; COMPUTE_PGM_RSRC2:TGID_X_EN: 1
; COMPUTE_PGM_RSRC2:TGID_Y_EN: 0
; COMPUTE_PGM_RSRC2:TGID_Z_EN: 0
; COMPUTE_PGM_RSRC2:TIDIG_COMP_CNT: 0
; COMPUTE_PGM_RSRC3_GFX90A:ACCUM_OFFSET: 2
; COMPUTE_PGM_RSRC3_GFX90A:TG_SPLIT: 0
	.section	.text._ZN9rocsparseL17sddmm_coox_kernelILi512ELi8ELb0EDF16_iiDF16_DF16_DF16_EEv20rocsparse_operation_S1_16rocsparse_order_S2_T4_S3_S3_T3_NS_24const_host_device_scalarIT2_EEPKT5_lPKT6_lS7_PT7_PKS4_SH_21rocsparse_index_base_b,"axG",@progbits,_ZN9rocsparseL17sddmm_coox_kernelILi512ELi8ELb0EDF16_iiDF16_DF16_DF16_EEv20rocsparse_operation_S1_16rocsparse_order_S2_T4_S3_S3_T3_NS_24const_host_device_scalarIT2_EEPKT5_lPKT6_lS7_PT7_PKS4_SH_21rocsparse_index_base_b,comdat
	.globl	_ZN9rocsparseL17sddmm_coox_kernelILi512ELi8ELb0EDF16_iiDF16_DF16_DF16_EEv20rocsparse_operation_S1_16rocsparse_order_S2_T4_S3_S3_T3_NS_24const_host_device_scalarIT2_EEPKT5_lPKT6_lS7_PT7_PKS4_SH_21rocsparse_index_base_b ; -- Begin function _ZN9rocsparseL17sddmm_coox_kernelILi512ELi8ELb0EDF16_iiDF16_DF16_DF16_EEv20rocsparse_operation_S1_16rocsparse_order_S2_T4_S3_S3_T3_NS_24const_host_device_scalarIT2_EEPKT5_lPKT6_lS7_PT7_PKS4_SH_21rocsparse_index_base_b
	.p2align	8
	.type	_ZN9rocsparseL17sddmm_coox_kernelILi512ELi8ELb0EDF16_iiDF16_DF16_DF16_EEv20rocsparse_operation_S1_16rocsparse_order_S2_T4_S3_S3_T3_NS_24const_host_device_scalarIT2_EEPKT5_lPKT6_lS7_PT7_PKS4_SH_21rocsparse_index_base_b,@function
_ZN9rocsparseL17sddmm_coox_kernelILi512ELi8ELb0EDF16_iiDF16_DF16_DF16_EEv20rocsparse_operation_S1_16rocsparse_order_S2_T4_S3_S3_T3_NS_24const_host_device_scalarIT2_EEPKT5_lPKT6_lS7_PT7_PKS4_SH_21rocsparse_index_base_b: ; @_ZN9rocsparseL17sddmm_coox_kernelILi512ELi8ELb0EDF16_iiDF16_DF16_DF16_EEv20rocsparse_operation_S1_16rocsparse_order_S2_T4_S3_S3_T3_NS_24const_host_device_scalarIT2_EEPKT5_lPKT6_lS7_PT7_PKS4_SH_21rocsparse_index_base_b
; %bb.0:
	s_load_dwordx2 s[16:17], s[4:5], 0x68
	s_load_dwordx2 s[2:3], s[4:5], 0x20
	s_load_dwordx4 s[8:11], s[4:5], 0x40
	s_waitcnt lgkmcnt(0)
	s_bitcmp1_b32 s17, 0
	s_cselect_b64 s[12:13], -1, 0
	s_xor_b64 s[0:1], s[12:13], -1
	s_and_b64 vcc, exec, s[12:13]
	v_mov_b32_e32 v10, s2
	s_cbranch_vccnz .LBB1_2
; %bb.1:
	v_mov_b32_e32 v1, 0
	global_load_ushort v10, v1, s[2:3]
.LBB1_2:
	s_andn2_b64 vcc, exec, s[0:1]
	v_mov_b32_e32 v11, s10
	s_cbranch_vccnz .LBB1_4
; %bb.3:
	v_mov_b32_e32 v1, 0
	global_load_ushort v11, v1, s[10:11]
.LBB1_4:
	s_waitcnt vmcnt(0)
	v_cmp_eq_f16_e32 vcc, 0, v10
	v_cmp_eq_f16_e64 s[0:1], 1.0, v11
	s_and_b64 s[0:1], vcc, s[0:1]
	s_and_b64 vcc, exec, s[0:1]
	s_cbranch_vccnz .LBB1_34
; %bb.5:
	s_load_dwordx2 s[10:11], s[4:5], 0x18
	v_lshrrev_b32_e32 v12, 3, v0
	v_lshl_or_b32 v2, s6, 6, v12
	s_waitcnt lgkmcnt(0)
	v_cmp_gt_i32_e32 vcc, s11, v2
	s_and_saveexec_b64 s[0:1], vcc
	s_cbranch_execz .LBB1_34
; %bb.6:
	s_load_dwordx4 s[0:3], s[4:5], 0x58
	v_ashrrev_i32_e32 v3, 31, v2
	v_lshlrev_b64 v[4:5], 2, v[2:3]
	s_waitcnt lgkmcnt(0)
	v_mov_b32_e32 v1, s1
	v_add_co_u32_e32 v6, vcc, s0, v4
	v_addc_co_u32_e32 v7, vcc, v1, v5, vcc
	global_load_dword v6, v[6:7], off
	v_mov_b32_e32 v1, s3
	v_add_co_u32_e32 v4, vcc, s2, v4
	v_addc_co_u32_e32 v5, vcc, v1, v5, vcc
	global_load_dword v1, v[4:5], off
	s_load_dwordx4 s[0:3], s[4:5], 0x0
	s_load_dwordx2 s[6:7], s[4:5], 0x30
	s_waitcnt lgkmcnt(0)
	s_cmp_eq_u32 s2, 1
	s_cselect_b64 s[12:13], -1, 0
	s_cmpk_eq_i32 s0, 0x6f
	s_cselect_b64 s[14:15], -1, 0
	s_cmpk_lg_i32 s0, 0x6f
	s_cselect_b64 s[18:19], -1, 0
	s_cmp_lg_u32 s2, 1
	s_waitcnt vmcnt(1)
	v_subrev_u32_e32 v6, s16, v6
	v_ashrrev_i32_e32 v7, 31, v6
	s_cbranch_scc0 .LBB1_10
; %bb.7:
	s_andn2_b64 vcc, exec, s[14:15]
	v_pk_mov_b32 v[4:5], v[6:7], v[6:7] op_sel:[0,1]
	s_cbranch_vccnz .LBB1_9
; %bb.8:
	v_mul_lo_u32 v8, v7, s6
	v_mul_lo_u32 v9, v6, s7
	v_mad_u64_u32 v[4:5], s[20:21], v6, s6, 0
	v_add3_u32 v5, v5, v9, v8
.LBB1_9:
	s_cbranch_execz .LBB1_11
	s_branch .LBB1_14
.LBB1_10:
                                        ; implicit-def: $vgpr4_vgpr5
.LBB1_11:
	s_andn2_b64 vcc, exec, s[18:19]
	s_cbranch_vccnz .LBB1_13
; %bb.12:
	v_mul_lo_u32 v4, v7, s6
	v_mul_lo_u32 v5, v6, s7
	v_mad_u64_u32 v[6:7], s[18:19], v6, s6, 0
	v_add3_u32 v7, v7, v5, v4
.LBB1_13:
	v_pk_mov_b32 v[4:5], v[6:7], v[6:7] op_sel:[0,1]
.LBB1_14:
	s_cmp_eq_u32 s3, 1
	s_waitcnt vmcnt(0)
	v_subrev_u32_e32 v6, s16, v1
	s_cselect_b64 s[16:17], -1, 0
	s_cmpk_eq_i32 s1, 0x6f
	s_cselect_b64 s[18:19], -1, 0
	s_cmpk_lg_i32 s1, 0x6f
	s_cselect_b64 s[0:1], -1, 0
	s_cmp_lg_u32 s3, 1
	v_ashrrev_i32_e32 v7, 31, v6
	s_cbranch_scc0 .LBB1_18
; %bb.15:
	s_andn2_b64 vcc, exec, s[0:1]
	v_pk_mov_b32 v[8:9], v[6:7], v[6:7] op_sel:[0,1]
	s_cbranch_vccnz .LBB1_17
; %bb.16:
	v_mul_lo_u32 v1, v7, s8
	v_mul_lo_u32 v13, v6, s9
	v_mad_u64_u32 v[8:9], s[0:1], v6, s8, 0
	v_add3_u32 v9, v9, v13, v1
.LBB1_17:
	s_cbranch_execz .LBB1_19
	s_branch .LBB1_22
.LBB1_18:
                                        ; implicit-def: $vgpr8_vgpr9
.LBB1_19:
	s_andn2_b64 vcc, exec, s[18:19]
	s_cbranch_vccnz .LBB1_21
; %bb.20:
	v_mul_lo_u32 v1, v7, s8
	v_mul_lo_u32 v8, v6, s9
	v_mad_u64_u32 v[6:7], s[0:1], v6, s8, 0
	v_add3_u32 v7, v7, v8, v1
.LBB1_21:
	v_pk_mov_b32 v[8:9], v[6:7], v[6:7] op_sel:[0,1]
.LBB1_22:
	s_load_dwordx2 s[0:1], s[4:5], 0x50
	v_and_b32_e32 v6, 7, v0
	v_cmp_gt_i32_e32 vcc, s10, v6
	v_mov_b32_e32 v7, 0
	s_and_saveexec_b64 s[2:3], vcc
	s_cbranch_execz .LBB1_26
; %bb.23:
	s_load_dwordx2 s[20:21], s[4:5], 0x38
	s_load_dwordx2 s[22:23], s[4:5], 0x28
	s_xor_b64 s[4:5], s[14:15], s[12:13]
	v_lshlrev_b64 v[0:1], 1, v[8:9]
	s_and_b64 s[4:5], s[4:5], exec
	s_waitcnt lgkmcnt(0)
	v_mov_b32_e32 v7, s21
	v_add_co_u32_e32 v8, vcc, s20, v0
	s_cselect_b32 s7, 1, s6
	s_xor_b64 s[4:5], s[18:19], s[16:17]
	v_addc_co_u32_e32 v9, vcc, v7, v1, vcc
	v_lshlrev_b64 v[0:1], 1, v[4:5]
	s_and_b64 s[4:5], s[4:5], exec
	v_mov_b32_e32 v4, s23
	v_add_co_u32_e32 v13, vcc, s22, v0
	s_cselect_b32 s4, s8, 1
	v_addc_co_u32_e32 v14, vcc, v4, v1, vcc
	v_mul_lo_u32 v0, s4, v6
	s_lshl_b32 s6, s4, 3
	v_mul_lo_u32 v4, s7, v6
	s_lshl_b32 s7, s7, 3
	s_mov_b64 s[4:5], 0
	v_mov_b32_e32 v7, 0
	v_mov_b32_e32 v15, v6
.LBB1_24:                               ; =>This Inner Loop Header: Depth=1
	v_ashrrev_i32_e32 v5, 31, v4
	v_lshlrev_b64 v[16:17], 1, v[4:5]
	v_add_co_u32_e32 v16, vcc, v13, v16
	v_addc_co_u32_e32 v17, vcc, v14, v17, vcc
	v_ashrrev_i32_e32 v1, 31, v0
	global_load_ushort v5, v[16:17], off
	v_lshlrev_b64 v[16:17], 1, v[0:1]
	v_add_co_u32_e32 v16, vcc, v8, v16
	v_addc_co_u32_e32 v17, vcc, v9, v17, vcc
	global_load_ushort v1, v[16:17], off
	v_add_u32_e32 v15, 8, v15
	v_cmp_le_i32_e32 vcc, s10, v15
	v_add_u32_e32 v0, s6, v0
	s_or_b64 s[4:5], vcc, s[4:5]
	v_add_u32_e32 v4, s7, v4
	s_waitcnt vmcnt(0)
	v_fma_f16 v7, v5, v1, v7
	s_andn2_b64 exec, exec, s[4:5]
	s_cbranch_execnz .LBB1_24
; %bb.25:
	s_or_b64 exec, exec, s[4:5]
.LBB1_26:
	s_or_b64 exec, exec, s[2:3]
	v_lshlrev_b32_e32 v0, 1, v6
	v_lshl_or_b32 v0, v12, 4, v0
	v_cmp_gt_u32_e32 vcc, 4, v6
	ds_write_b16 v0, v7
	s_waitcnt lgkmcnt(0)
	s_barrier
	s_and_saveexec_b64 s[2:3], vcc
	s_cbranch_execz .LBB1_28
; %bb.27:
	ds_read_u16 v1, v0
	ds_read_u16 v4, v0 offset:8
	s_waitcnt lgkmcnt(0)
	v_add_f16_e32 v1, v4, v1
	ds_write_b16 v0, v1
.LBB1_28:
	s_or_b64 exec, exec, s[2:3]
	v_cmp_gt_u32_e32 vcc, 2, v6
	s_waitcnt lgkmcnt(0)
	s_barrier
	s_and_saveexec_b64 s[2:3], vcc
	s_cbranch_execz .LBB1_30
; %bb.29:
	ds_read_u16 v1, v0
	ds_read_u16 v4, v0 offset:4
	s_waitcnt lgkmcnt(0)
	v_add_f16_e32 v1, v4, v1
	ds_write_b16 v0, v1
.LBB1_30:
	s_or_b64 exec, exec, s[2:3]
	v_cmp_eq_u32_e32 vcc, 0, v6
	v_lshlrev_b32_e32 v1, 4, v12
	s_waitcnt lgkmcnt(0)
	s_barrier
	s_and_saveexec_b64 s[2:3], vcc
	s_cbranch_execz .LBB1_32
; %bb.31:
	ds_read_u16 v4, v1 offset:2
	ds_read_u16 v5, v0
	s_waitcnt lgkmcnt(0)
	v_add_f16_e32 v4, v4, v5
	ds_write_b16 v0, v4
.LBB1_32:
	s_or_b64 exec, exec, s[2:3]
	s_waitcnt lgkmcnt(0)
	s_barrier
	s_and_b64 exec, exec, vcc
	s_cbranch_execz .LBB1_34
; %bb.33:
	v_lshlrev_b64 v[2:3], 1, v[2:3]
	v_mov_b32_e32 v0, s1
	v_add_co_u32_e32 v2, vcc, s0, v2
	v_addc_co_u32_e32 v3, vcc, v0, v3, vcc
	global_load_ushort v0, v[2:3], off
	ds_read_u16 v1, v1
	s_waitcnt lgkmcnt(0)
	v_mul_f16_e32 v1, v10, v1
	s_waitcnt vmcnt(0)
	v_fma_f16 v0, v11, v0, v1
	global_store_short v[2:3], v0, off
.LBB1_34:
	s_endpgm
	.section	.rodata,"a",@progbits
	.p2align	6, 0x0
	.amdhsa_kernel _ZN9rocsparseL17sddmm_coox_kernelILi512ELi8ELb0EDF16_iiDF16_DF16_DF16_EEv20rocsparse_operation_S1_16rocsparse_order_S2_T4_S3_S3_T3_NS_24const_host_device_scalarIT2_EEPKT5_lPKT6_lS7_PT7_PKS4_SH_21rocsparse_index_base_b
		.amdhsa_group_segment_fixed_size 1024
		.amdhsa_private_segment_fixed_size 0
		.amdhsa_kernarg_size 112
		.amdhsa_user_sgpr_count 6
		.amdhsa_user_sgpr_private_segment_buffer 1
		.amdhsa_user_sgpr_dispatch_ptr 0
		.amdhsa_user_sgpr_queue_ptr 0
		.amdhsa_user_sgpr_kernarg_segment_ptr 1
		.amdhsa_user_sgpr_dispatch_id 0
		.amdhsa_user_sgpr_flat_scratch_init 0
		.amdhsa_user_sgpr_kernarg_preload_length 0
		.amdhsa_user_sgpr_kernarg_preload_offset 0
		.amdhsa_user_sgpr_private_segment_size 0
		.amdhsa_uses_dynamic_stack 0
		.amdhsa_system_sgpr_private_segment_wavefront_offset 0
		.amdhsa_system_sgpr_workgroup_id_x 1
		.amdhsa_system_sgpr_workgroup_id_y 0
		.amdhsa_system_sgpr_workgroup_id_z 0
		.amdhsa_system_sgpr_workgroup_info 0
		.amdhsa_system_vgpr_workitem_id 0
		.amdhsa_next_free_vgpr 18
		.amdhsa_next_free_sgpr 24
		.amdhsa_accum_offset 20
		.amdhsa_reserve_vcc 1
		.amdhsa_reserve_flat_scratch 0
		.amdhsa_float_round_mode_32 0
		.amdhsa_float_round_mode_16_64 0
		.amdhsa_float_denorm_mode_32 3
		.amdhsa_float_denorm_mode_16_64 3
		.amdhsa_dx10_clamp 1
		.amdhsa_ieee_mode 1
		.amdhsa_fp16_overflow 0
		.amdhsa_tg_split 0
		.amdhsa_exception_fp_ieee_invalid_op 0
		.amdhsa_exception_fp_denorm_src 0
		.amdhsa_exception_fp_ieee_div_zero 0
		.amdhsa_exception_fp_ieee_overflow 0
		.amdhsa_exception_fp_ieee_underflow 0
		.amdhsa_exception_fp_ieee_inexact 0
		.amdhsa_exception_int_div_zero 0
	.end_amdhsa_kernel
	.section	.text._ZN9rocsparseL17sddmm_coox_kernelILi512ELi8ELb0EDF16_iiDF16_DF16_DF16_EEv20rocsparse_operation_S1_16rocsparse_order_S2_T4_S3_S3_T3_NS_24const_host_device_scalarIT2_EEPKT5_lPKT6_lS7_PT7_PKS4_SH_21rocsparse_index_base_b,"axG",@progbits,_ZN9rocsparseL17sddmm_coox_kernelILi512ELi8ELb0EDF16_iiDF16_DF16_DF16_EEv20rocsparse_operation_S1_16rocsparse_order_S2_T4_S3_S3_T3_NS_24const_host_device_scalarIT2_EEPKT5_lPKT6_lS7_PT7_PKS4_SH_21rocsparse_index_base_b,comdat
.Lfunc_end1:
	.size	_ZN9rocsparseL17sddmm_coox_kernelILi512ELi8ELb0EDF16_iiDF16_DF16_DF16_EEv20rocsparse_operation_S1_16rocsparse_order_S2_T4_S3_S3_T3_NS_24const_host_device_scalarIT2_EEPKT5_lPKT6_lS7_PT7_PKS4_SH_21rocsparse_index_base_b, .Lfunc_end1-_ZN9rocsparseL17sddmm_coox_kernelILi512ELi8ELb0EDF16_iiDF16_DF16_DF16_EEv20rocsparse_operation_S1_16rocsparse_order_S2_T4_S3_S3_T3_NS_24const_host_device_scalarIT2_EEPKT5_lPKT6_lS7_PT7_PKS4_SH_21rocsparse_index_base_b
                                        ; -- End function
	.section	.AMDGPU.csdata,"",@progbits
; Kernel info:
; codeLenInByte = 1060
; NumSgprs: 28
; NumVgprs: 18
; NumAgprs: 0
; TotalNumVgprs: 18
; ScratchSize: 0
; MemoryBound: 0
; FloatMode: 240
; IeeeMode: 1
; LDSByteSize: 1024 bytes/workgroup (compile time only)
; SGPRBlocks: 3
; VGPRBlocks: 2
; NumSGPRsForWavesPerEU: 28
; NumVGPRsForWavesPerEU: 18
; AccumOffset: 20
; Occupancy: 8
; WaveLimiterHint : 0
; COMPUTE_PGM_RSRC2:SCRATCH_EN: 0
; COMPUTE_PGM_RSRC2:USER_SGPR: 6
; COMPUTE_PGM_RSRC2:TRAP_HANDLER: 0
; COMPUTE_PGM_RSRC2:TGID_X_EN: 1
; COMPUTE_PGM_RSRC2:TGID_Y_EN: 0
; COMPUTE_PGM_RSRC2:TGID_Z_EN: 0
; COMPUTE_PGM_RSRC2:TIDIG_COMP_CNT: 0
; COMPUTE_PGM_RSRC3_GFX90A:ACCUM_OFFSET: 4
; COMPUTE_PGM_RSRC3_GFX90A:TG_SPLIT: 0
	.section	.text._ZN9rocsparseL17sddmm_coox_kernelILi512ELi4ELb0EDF16_iiDF16_DF16_DF16_EEv20rocsparse_operation_S1_16rocsparse_order_S2_T4_S3_S3_T3_NS_24const_host_device_scalarIT2_EEPKT5_lPKT6_lS7_PT7_PKS4_SH_21rocsparse_index_base_b,"axG",@progbits,_ZN9rocsparseL17sddmm_coox_kernelILi512ELi4ELb0EDF16_iiDF16_DF16_DF16_EEv20rocsparse_operation_S1_16rocsparse_order_S2_T4_S3_S3_T3_NS_24const_host_device_scalarIT2_EEPKT5_lPKT6_lS7_PT7_PKS4_SH_21rocsparse_index_base_b,comdat
	.globl	_ZN9rocsparseL17sddmm_coox_kernelILi512ELi4ELb0EDF16_iiDF16_DF16_DF16_EEv20rocsparse_operation_S1_16rocsparse_order_S2_T4_S3_S3_T3_NS_24const_host_device_scalarIT2_EEPKT5_lPKT6_lS7_PT7_PKS4_SH_21rocsparse_index_base_b ; -- Begin function _ZN9rocsparseL17sddmm_coox_kernelILi512ELi4ELb0EDF16_iiDF16_DF16_DF16_EEv20rocsparse_operation_S1_16rocsparse_order_S2_T4_S3_S3_T3_NS_24const_host_device_scalarIT2_EEPKT5_lPKT6_lS7_PT7_PKS4_SH_21rocsparse_index_base_b
	.p2align	8
	.type	_ZN9rocsparseL17sddmm_coox_kernelILi512ELi4ELb0EDF16_iiDF16_DF16_DF16_EEv20rocsparse_operation_S1_16rocsparse_order_S2_T4_S3_S3_T3_NS_24const_host_device_scalarIT2_EEPKT5_lPKT6_lS7_PT7_PKS4_SH_21rocsparse_index_base_b,@function
_ZN9rocsparseL17sddmm_coox_kernelILi512ELi4ELb0EDF16_iiDF16_DF16_DF16_EEv20rocsparse_operation_S1_16rocsparse_order_S2_T4_S3_S3_T3_NS_24const_host_device_scalarIT2_EEPKT5_lPKT6_lS7_PT7_PKS4_SH_21rocsparse_index_base_b: ; @_ZN9rocsparseL17sddmm_coox_kernelILi512ELi4ELb0EDF16_iiDF16_DF16_DF16_EEv20rocsparse_operation_S1_16rocsparse_order_S2_T4_S3_S3_T3_NS_24const_host_device_scalarIT2_EEPKT5_lPKT6_lS7_PT7_PKS4_SH_21rocsparse_index_base_b
; %bb.0:
	s_load_dwordx2 s[16:17], s[4:5], 0x68
	s_load_dwordx2 s[2:3], s[4:5], 0x20
	s_load_dwordx4 s[8:11], s[4:5], 0x40
	s_waitcnt lgkmcnt(0)
	s_bitcmp1_b32 s17, 0
	s_cselect_b64 s[12:13], -1, 0
	s_xor_b64 s[0:1], s[12:13], -1
	s_and_b64 vcc, exec, s[12:13]
	v_mov_b32_e32 v10, s2
	s_cbranch_vccnz .LBB2_2
; %bb.1:
	v_mov_b32_e32 v1, 0
	global_load_ushort v10, v1, s[2:3]
.LBB2_2:
	s_andn2_b64 vcc, exec, s[0:1]
	v_mov_b32_e32 v11, s10
	s_cbranch_vccnz .LBB2_4
; %bb.3:
	v_mov_b32_e32 v1, 0
	global_load_ushort v11, v1, s[10:11]
.LBB2_4:
	s_waitcnt vmcnt(0)
	v_cmp_eq_f16_e32 vcc, 0, v10
	v_cmp_eq_f16_e64 s[0:1], 1.0, v11
	s_and_b64 s[0:1], vcc, s[0:1]
	s_and_b64 vcc, exec, s[0:1]
	s_cbranch_vccnz .LBB2_32
; %bb.5:
	s_load_dwordx2 s[10:11], s[4:5], 0x18
	v_lshrrev_b32_e32 v12, 2, v0
	v_lshl_or_b32 v2, s6, 7, v12
	s_waitcnt lgkmcnt(0)
	v_cmp_gt_i32_e32 vcc, s11, v2
	s_and_saveexec_b64 s[0:1], vcc
	s_cbranch_execz .LBB2_32
; %bb.6:
	s_load_dwordx4 s[0:3], s[4:5], 0x58
	v_ashrrev_i32_e32 v3, 31, v2
	v_lshlrev_b64 v[4:5], 2, v[2:3]
	s_waitcnt lgkmcnt(0)
	v_mov_b32_e32 v1, s1
	v_add_co_u32_e32 v6, vcc, s0, v4
	v_addc_co_u32_e32 v7, vcc, v1, v5, vcc
	global_load_dword v6, v[6:7], off
	v_mov_b32_e32 v1, s3
	v_add_co_u32_e32 v4, vcc, s2, v4
	v_addc_co_u32_e32 v5, vcc, v1, v5, vcc
	global_load_dword v1, v[4:5], off
	s_load_dwordx4 s[0:3], s[4:5], 0x0
	s_load_dwordx2 s[6:7], s[4:5], 0x30
	s_waitcnt lgkmcnt(0)
	s_cmp_eq_u32 s2, 1
	s_cselect_b64 s[12:13], -1, 0
	s_cmpk_eq_i32 s0, 0x6f
	s_cselect_b64 s[14:15], -1, 0
	s_cmpk_lg_i32 s0, 0x6f
	s_cselect_b64 s[18:19], -1, 0
	s_cmp_lg_u32 s2, 1
	s_waitcnt vmcnt(1)
	v_subrev_u32_e32 v6, s16, v6
	v_ashrrev_i32_e32 v7, 31, v6
	s_cbranch_scc0 .LBB2_10
; %bb.7:
	s_andn2_b64 vcc, exec, s[14:15]
	v_pk_mov_b32 v[4:5], v[6:7], v[6:7] op_sel:[0,1]
	s_cbranch_vccnz .LBB2_9
; %bb.8:
	v_mul_lo_u32 v8, v7, s6
	v_mul_lo_u32 v9, v6, s7
	v_mad_u64_u32 v[4:5], s[20:21], v6, s6, 0
	v_add3_u32 v5, v5, v9, v8
.LBB2_9:
	s_cbranch_execz .LBB2_11
	s_branch .LBB2_14
.LBB2_10:
                                        ; implicit-def: $vgpr4_vgpr5
.LBB2_11:
	s_andn2_b64 vcc, exec, s[18:19]
	s_cbranch_vccnz .LBB2_13
; %bb.12:
	v_mul_lo_u32 v4, v7, s6
	v_mul_lo_u32 v5, v6, s7
	v_mad_u64_u32 v[6:7], s[18:19], v6, s6, 0
	v_add3_u32 v7, v7, v5, v4
.LBB2_13:
	v_pk_mov_b32 v[4:5], v[6:7], v[6:7] op_sel:[0,1]
.LBB2_14:
	s_cmp_eq_u32 s3, 1
	s_waitcnt vmcnt(0)
	v_subrev_u32_e32 v6, s16, v1
	s_cselect_b64 s[16:17], -1, 0
	s_cmpk_eq_i32 s1, 0x6f
	s_cselect_b64 s[18:19], -1, 0
	s_cmpk_lg_i32 s1, 0x6f
	s_cselect_b64 s[0:1], -1, 0
	s_cmp_lg_u32 s3, 1
	v_ashrrev_i32_e32 v7, 31, v6
	s_cbranch_scc0 .LBB2_18
; %bb.15:
	s_andn2_b64 vcc, exec, s[0:1]
	v_pk_mov_b32 v[8:9], v[6:7], v[6:7] op_sel:[0,1]
	s_cbranch_vccnz .LBB2_17
; %bb.16:
	v_mul_lo_u32 v1, v7, s8
	v_mul_lo_u32 v13, v6, s9
	v_mad_u64_u32 v[8:9], s[0:1], v6, s8, 0
	v_add3_u32 v9, v9, v13, v1
.LBB2_17:
	s_cbranch_execz .LBB2_19
	s_branch .LBB2_22
.LBB2_18:
                                        ; implicit-def: $vgpr8_vgpr9
.LBB2_19:
	s_andn2_b64 vcc, exec, s[18:19]
	s_cbranch_vccnz .LBB2_21
; %bb.20:
	v_mul_lo_u32 v1, v7, s8
	v_mul_lo_u32 v8, v6, s9
	v_mad_u64_u32 v[6:7], s[0:1], v6, s8, 0
	v_add3_u32 v7, v7, v8, v1
.LBB2_21:
	v_pk_mov_b32 v[8:9], v[6:7], v[6:7] op_sel:[0,1]
.LBB2_22:
	s_load_dwordx2 s[0:1], s[4:5], 0x50
	v_and_b32_e32 v6, 3, v0
	v_cmp_gt_i32_e32 vcc, s10, v6
	v_mov_b32_e32 v7, 0
	s_and_saveexec_b64 s[2:3], vcc
	s_cbranch_execz .LBB2_26
; %bb.23:
	s_load_dwordx2 s[20:21], s[4:5], 0x38
	s_load_dwordx2 s[22:23], s[4:5], 0x28
	s_xor_b64 s[4:5], s[14:15], s[12:13]
	v_lshlrev_b64 v[0:1], 1, v[8:9]
	s_and_b64 s[4:5], s[4:5], exec
	s_waitcnt lgkmcnt(0)
	v_mov_b32_e32 v7, s21
	v_add_co_u32_e32 v8, vcc, s20, v0
	s_cselect_b32 s7, 1, s6
	s_xor_b64 s[4:5], s[18:19], s[16:17]
	v_addc_co_u32_e32 v9, vcc, v7, v1, vcc
	v_lshlrev_b64 v[0:1], 1, v[4:5]
	s_and_b64 s[4:5], s[4:5], exec
	v_mov_b32_e32 v4, s23
	v_add_co_u32_e32 v13, vcc, s22, v0
	s_cselect_b32 s4, s8, 1
	v_addc_co_u32_e32 v14, vcc, v4, v1, vcc
	v_mul_lo_u32 v0, s4, v6
	s_lshl_b32 s6, s4, 2
	v_mul_lo_u32 v4, s7, v6
	s_lshl_b32 s7, s7, 2
	s_mov_b64 s[4:5], 0
	v_mov_b32_e32 v7, 0
	v_mov_b32_e32 v15, v6
.LBB2_24:                               ; =>This Inner Loop Header: Depth=1
	v_ashrrev_i32_e32 v5, 31, v4
	v_lshlrev_b64 v[16:17], 1, v[4:5]
	v_add_co_u32_e32 v16, vcc, v13, v16
	v_addc_co_u32_e32 v17, vcc, v14, v17, vcc
	v_ashrrev_i32_e32 v1, 31, v0
	global_load_ushort v5, v[16:17], off
	v_lshlrev_b64 v[16:17], 1, v[0:1]
	v_add_co_u32_e32 v16, vcc, v8, v16
	v_addc_co_u32_e32 v17, vcc, v9, v17, vcc
	global_load_ushort v1, v[16:17], off
	v_add_u32_e32 v15, 4, v15
	v_cmp_le_i32_e32 vcc, s10, v15
	v_add_u32_e32 v0, s6, v0
	s_or_b64 s[4:5], vcc, s[4:5]
	v_add_u32_e32 v4, s7, v4
	s_waitcnt vmcnt(0)
	v_fma_f16 v7, v5, v1, v7
	s_andn2_b64 exec, exec, s[4:5]
	s_cbranch_execnz .LBB2_24
; %bb.25:
	s_or_b64 exec, exec, s[4:5]
.LBB2_26:
	s_or_b64 exec, exec, s[2:3]
	v_lshlrev_b32_e32 v0, 1, v6
	v_lshl_or_b32 v0, v12, 3, v0
	v_cmp_gt_u32_e32 vcc, 2, v6
	ds_write_b16 v0, v7
	s_waitcnt lgkmcnt(0)
	s_barrier
	s_and_saveexec_b64 s[2:3], vcc
	s_cbranch_execz .LBB2_28
; %bb.27:
	ds_read_u16 v1, v0
	ds_read_u16 v4, v0 offset:4
	s_waitcnt lgkmcnt(0)
	v_add_f16_e32 v1, v4, v1
	ds_write_b16 v0, v1
.LBB2_28:
	s_or_b64 exec, exec, s[2:3]
	v_cmp_eq_u32_e32 vcc, 0, v6
	v_lshlrev_b32_e32 v1, 3, v12
	s_waitcnt lgkmcnt(0)
	s_barrier
	s_and_saveexec_b64 s[2:3], vcc
	s_cbranch_execz .LBB2_30
; %bb.29:
	ds_read_u16 v4, v1 offset:2
	ds_read_u16 v5, v0
	s_waitcnt lgkmcnt(0)
	v_add_f16_e32 v4, v4, v5
	ds_write_b16 v0, v4
.LBB2_30:
	s_or_b64 exec, exec, s[2:3]
	s_waitcnt lgkmcnt(0)
	s_barrier
	s_and_b64 exec, exec, vcc
	s_cbranch_execz .LBB2_32
; %bb.31:
	v_lshlrev_b64 v[2:3], 1, v[2:3]
	v_mov_b32_e32 v0, s1
	v_add_co_u32_e32 v2, vcc, s0, v2
	v_addc_co_u32_e32 v3, vcc, v0, v3, vcc
	global_load_ushort v0, v[2:3], off
	ds_read_u16 v1, v1
	s_waitcnt lgkmcnt(0)
	v_mul_f16_e32 v1, v10, v1
	s_waitcnt vmcnt(0)
	v_fma_f16 v0, v11, v0, v1
	global_store_short v[2:3], v0, off
.LBB2_32:
	s_endpgm
	.section	.rodata,"a",@progbits
	.p2align	6, 0x0
	.amdhsa_kernel _ZN9rocsparseL17sddmm_coox_kernelILi512ELi4ELb0EDF16_iiDF16_DF16_DF16_EEv20rocsparse_operation_S1_16rocsparse_order_S2_T4_S3_S3_T3_NS_24const_host_device_scalarIT2_EEPKT5_lPKT6_lS7_PT7_PKS4_SH_21rocsparse_index_base_b
		.amdhsa_group_segment_fixed_size 1024
		.amdhsa_private_segment_fixed_size 0
		.amdhsa_kernarg_size 112
		.amdhsa_user_sgpr_count 6
		.amdhsa_user_sgpr_private_segment_buffer 1
		.amdhsa_user_sgpr_dispatch_ptr 0
		.amdhsa_user_sgpr_queue_ptr 0
		.amdhsa_user_sgpr_kernarg_segment_ptr 1
		.amdhsa_user_sgpr_dispatch_id 0
		.amdhsa_user_sgpr_flat_scratch_init 0
		.amdhsa_user_sgpr_kernarg_preload_length 0
		.amdhsa_user_sgpr_kernarg_preload_offset 0
		.amdhsa_user_sgpr_private_segment_size 0
		.amdhsa_uses_dynamic_stack 0
		.amdhsa_system_sgpr_private_segment_wavefront_offset 0
		.amdhsa_system_sgpr_workgroup_id_x 1
		.amdhsa_system_sgpr_workgroup_id_y 0
		.amdhsa_system_sgpr_workgroup_id_z 0
		.amdhsa_system_sgpr_workgroup_info 0
		.amdhsa_system_vgpr_workitem_id 0
		.amdhsa_next_free_vgpr 18
		.amdhsa_next_free_sgpr 24
		.amdhsa_accum_offset 20
		.amdhsa_reserve_vcc 1
		.amdhsa_reserve_flat_scratch 0
		.amdhsa_float_round_mode_32 0
		.amdhsa_float_round_mode_16_64 0
		.amdhsa_float_denorm_mode_32 3
		.amdhsa_float_denorm_mode_16_64 3
		.amdhsa_dx10_clamp 1
		.amdhsa_ieee_mode 1
		.amdhsa_fp16_overflow 0
		.amdhsa_tg_split 0
		.amdhsa_exception_fp_ieee_invalid_op 0
		.amdhsa_exception_fp_denorm_src 0
		.amdhsa_exception_fp_ieee_div_zero 0
		.amdhsa_exception_fp_ieee_overflow 0
		.amdhsa_exception_fp_ieee_underflow 0
		.amdhsa_exception_fp_ieee_inexact 0
		.amdhsa_exception_int_div_zero 0
	.end_amdhsa_kernel
	.section	.text._ZN9rocsparseL17sddmm_coox_kernelILi512ELi4ELb0EDF16_iiDF16_DF16_DF16_EEv20rocsparse_operation_S1_16rocsparse_order_S2_T4_S3_S3_T3_NS_24const_host_device_scalarIT2_EEPKT5_lPKT6_lS7_PT7_PKS4_SH_21rocsparse_index_base_b,"axG",@progbits,_ZN9rocsparseL17sddmm_coox_kernelILi512ELi4ELb0EDF16_iiDF16_DF16_DF16_EEv20rocsparse_operation_S1_16rocsparse_order_S2_T4_S3_S3_T3_NS_24const_host_device_scalarIT2_EEPKT5_lPKT6_lS7_PT7_PKS4_SH_21rocsparse_index_base_b,comdat
.Lfunc_end2:
	.size	_ZN9rocsparseL17sddmm_coox_kernelILi512ELi4ELb0EDF16_iiDF16_DF16_DF16_EEv20rocsparse_operation_S1_16rocsparse_order_S2_T4_S3_S3_T3_NS_24const_host_device_scalarIT2_EEPKT5_lPKT6_lS7_PT7_PKS4_SH_21rocsparse_index_base_b, .Lfunc_end2-_ZN9rocsparseL17sddmm_coox_kernelILi512ELi4ELb0EDF16_iiDF16_DF16_DF16_EEv20rocsparse_operation_S1_16rocsparse_order_S2_T4_S3_S3_T3_NS_24const_host_device_scalarIT2_EEPKT5_lPKT6_lS7_PT7_PKS4_SH_21rocsparse_index_base_b
                                        ; -- End function
	.section	.AMDGPU.csdata,"",@progbits
; Kernel info:
; codeLenInByte = 1004
; NumSgprs: 28
; NumVgprs: 18
; NumAgprs: 0
; TotalNumVgprs: 18
; ScratchSize: 0
; MemoryBound: 0
; FloatMode: 240
; IeeeMode: 1
; LDSByteSize: 1024 bytes/workgroup (compile time only)
; SGPRBlocks: 3
; VGPRBlocks: 2
; NumSGPRsForWavesPerEU: 28
; NumVGPRsForWavesPerEU: 18
; AccumOffset: 20
; Occupancy: 8
; WaveLimiterHint : 0
; COMPUTE_PGM_RSRC2:SCRATCH_EN: 0
; COMPUTE_PGM_RSRC2:USER_SGPR: 6
; COMPUTE_PGM_RSRC2:TRAP_HANDLER: 0
; COMPUTE_PGM_RSRC2:TGID_X_EN: 1
; COMPUTE_PGM_RSRC2:TGID_Y_EN: 0
; COMPUTE_PGM_RSRC2:TGID_Z_EN: 0
; COMPUTE_PGM_RSRC2:TIDIG_COMP_CNT: 0
; COMPUTE_PGM_RSRC3_GFX90A:ACCUM_OFFSET: 4
; COMPUTE_PGM_RSRC3_GFX90A:TG_SPLIT: 0
	.section	.text._ZN9rocsparseL17sddmm_coox_kernelILi512ELi2ELb0EDF16_iiDF16_DF16_DF16_EEv20rocsparse_operation_S1_16rocsparse_order_S2_T4_S3_S3_T3_NS_24const_host_device_scalarIT2_EEPKT5_lPKT6_lS7_PT7_PKS4_SH_21rocsparse_index_base_b,"axG",@progbits,_ZN9rocsparseL17sddmm_coox_kernelILi512ELi2ELb0EDF16_iiDF16_DF16_DF16_EEv20rocsparse_operation_S1_16rocsparse_order_S2_T4_S3_S3_T3_NS_24const_host_device_scalarIT2_EEPKT5_lPKT6_lS7_PT7_PKS4_SH_21rocsparse_index_base_b,comdat
	.globl	_ZN9rocsparseL17sddmm_coox_kernelILi512ELi2ELb0EDF16_iiDF16_DF16_DF16_EEv20rocsparse_operation_S1_16rocsparse_order_S2_T4_S3_S3_T3_NS_24const_host_device_scalarIT2_EEPKT5_lPKT6_lS7_PT7_PKS4_SH_21rocsparse_index_base_b ; -- Begin function _ZN9rocsparseL17sddmm_coox_kernelILi512ELi2ELb0EDF16_iiDF16_DF16_DF16_EEv20rocsparse_operation_S1_16rocsparse_order_S2_T4_S3_S3_T3_NS_24const_host_device_scalarIT2_EEPKT5_lPKT6_lS7_PT7_PKS4_SH_21rocsparse_index_base_b
	.p2align	8
	.type	_ZN9rocsparseL17sddmm_coox_kernelILi512ELi2ELb0EDF16_iiDF16_DF16_DF16_EEv20rocsparse_operation_S1_16rocsparse_order_S2_T4_S3_S3_T3_NS_24const_host_device_scalarIT2_EEPKT5_lPKT6_lS7_PT7_PKS4_SH_21rocsparse_index_base_b,@function
_ZN9rocsparseL17sddmm_coox_kernelILi512ELi2ELb0EDF16_iiDF16_DF16_DF16_EEv20rocsparse_operation_S1_16rocsparse_order_S2_T4_S3_S3_T3_NS_24const_host_device_scalarIT2_EEPKT5_lPKT6_lS7_PT7_PKS4_SH_21rocsparse_index_base_b: ; @_ZN9rocsparseL17sddmm_coox_kernelILi512ELi2ELb0EDF16_iiDF16_DF16_DF16_EEv20rocsparse_operation_S1_16rocsparse_order_S2_T4_S3_S3_T3_NS_24const_host_device_scalarIT2_EEPKT5_lPKT6_lS7_PT7_PKS4_SH_21rocsparse_index_base_b
; %bb.0:
	s_load_dwordx2 s[16:17], s[4:5], 0x68
	s_load_dwordx2 s[2:3], s[4:5], 0x20
	s_load_dwordx4 s[8:11], s[4:5], 0x40
	s_waitcnt lgkmcnt(0)
	s_bitcmp1_b32 s17, 0
	s_cselect_b64 s[12:13], -1, 0
	s_xor_b64 s[0:1], s[12:13], -1
	s_and_b64 vcc, exec, s[12:13]
	v_mov_b32_e32 v10, s2
	s_cbranch_vccnz .LBB3_2
; %bb.1:
	v_mov_b32_e32 v1, 0
	global_load_ushort v10, v1, s[2:3]
.LBB3_2:
	s_andn2_b64 vcc, exec, s[0:1]
	v_mov_b32_e32 v11, s10
	s_cbranch_vccnz .LBB3_4
; %bb.3:
	v_mov_b32_e32 v1, 0
	global_load_ushort v11, v1, s[10:11]
.LBB3_4:
	s_waitcnt vmcnt(0)
	v_cmp_eq_f16_e32 vcc, 0, v10
	v_cmp_eq_f16_e64 s[0:1], 1.0, v11
	s_and_b64 s[0:1], vcc, s[0:1]
	s_and_b64 vcc, exec, s[0:1]
	s_cbranch_vccnz .LBB3_30
; %bb.5:
	s_load_dwordx2 s[10:11], s[4:5], 0x18
	v_lshrrev_b32_e32 v12, 1, v0
	v_lshl_or_b32 v2, s6, 8, v12
	s_waitcnt lgkmcnt(0)
	v_cmp_gt_i32_e32 vcc, s11, v2
	s_and_saveexec_b64 s[0:1], vcc
	s_cbranch_execz .LBB3_30
; %bb.6:
	s_load_dwordx4 s[0:3], s[4:5], 0x58
	v_ashrrev_i32_e32 v3, 31, v2
	v_lshlrev_b64 v[4:5], 2, v[2:3]
	s_waitcnt lgkmcnt(0)
	v_mov_b32_e32 v1, s1
	v_add_co_u32_e32 v6, vcc, s0, v4
	v_addc_co_u32_e32 v7, vcc, v1, v5, vcc
	global_load_dword v6, v[6:7], off
	v_mov_b32_e32 v1, s3
	v_add_co_u32_e32 v4, vcc, s2, v4
	v_addc_co_u32_e32 v5, vcc, v1, v5, vcc
	global_load_dword v1, v[4:5], off
	s_load_dwordx4 s[0:3], s[4:5], 0x0
	s_load_dwordx2 s[6:7], s[4:5], 0x30
	s_waitcnt lgkmcnt(0)
	s_cmp_eq_u32 s2, 1
	s_cselect_b64 s[12:13], -1, 0
	s_cmpk_eq_i32 s0, 0x6f
	s_cselect_b64 s[14:15], -1, 0
	s_cmpk_lg_i32 s0, 0x6f
	s_cselect_b64 s[18:19], -1, 0
	s_cmp_lg_u32 s2, 1
	s_waitcnt vmcnt(1)
	v_subrev_u32_e32 v6, s16, v6
	v_ashrrev_i32_e32 v7, 31, v6
	s_cbranch_scc0 .LBB3_10
; %bb.7:
	s_andn2_b64 vcc, exec, s[14:15]
	v_pk_mov_b32 v[4:5], v[6:7], v[6:7] op_sel:[0,1]
	s_cbranch_vccnz .LBB3_9
; %bb.8:
	v_mul_lo_u32 v8, v7, s6
	v_mul_lo_u32 v9, v6, s7
	v_mad_u64_u32 v[4:5], s[20:21], v6, s6, 0
	v_add3_u32 v5, v5, v9, v8
.LBB3_9:
	s_cbranch_execz .LBB3_11
	s_branch .LBB3_14
.LBB3_10:
                                        ; implicit-def: $vgpr4_vgpr5
.LBB3_11:
	s_andn2_b64 vcc, exec, s[18:19]
	s_cbranch_vccnz .LBB3_13
; %bb.12:
	v_mul_lo_u32 v4, v7, s6
	v_mul_lo_u32 v5, v6, s7
	v_mad_u64_u32 v[6:7], s[18:19], v6, s6, 0
	v_add3_u32 v7, v7, v5, v4
.LBB3_13:
	v_pk_mov_b32 v[4:5], v[6:7], v[6:7] op_sel:[0,1]
.LBB3_14:
	s_cmp_eq_u32 s3, 1
	s_waitcnt vmcnt(0)
	v_subrev_u32_e32 v6, s16, v1
	s_cselect_b64 s[16:17], -1, 0
	s_cmpk_eq_i32 s1, 0x6f
	s_cselect_b64 s[18:19], -1, 0
	s_cmpk_lg_i32 s1, 0x6f
	s_cselect_b64 s[0:1], -1, 0
	s_cmp_lg_u32 s3, 1
	v_ashrrev_i32_e32 v7, 31, v6
	s_cbranch_scc0 .LBB3_18
; %bb.15:
	s_andn2_b64 vcc, exec, s[0:1]
	v_pk_mov_b32 v[8:9], v[6:7], v[6:7] op_sel:[0,1]
	s_cbranch_vccnz .LBB3_17
; %bb.16:
	v_mul_lo_u32 v1, v7, s8
	v_mul_lo_u32 v13, v6, s9
	v_mad_u64_u32 v[8:9], s[0:1], v6, s8, 0
	v_add3_u32 v9, v9, v13, v1
.LBB3_17:
	s_cbranch_execz .LBB3_19
	s_branch .LBB3_22
.LBB3_18:
                                        ; implicit-def: $vgpr8_vgpr9
.LBB3_19:
	s_andn2_b64 vcc, exec, s[18:19]
	s_cbranch_vccnz .LBB3_21
; %bb.20:
	v_mul_lo_u32 v1, v7, s8
	v_mul_lo_u32 v8, v6, s9
	v_mad_u64_u32 v[6:7], s[0:1], v6, s8, 0
	v_add3_u32 v7, v7, v8, v1
.LBB3_21:
	v_pk_mov_b32 v[8:9], v[6:7], v[6:7] op_sel:[0,1]
.LBB3_22:
	s_load_dwordx2 s[0:1], s[4:5], 0x50
	v_and_b32_e32 v6, 1, v0
	v_cmp_gt_i32_e32 vcc, s10, v6
	v_mov_b32_e32 v7, 0
	s_and_saveexec_b64 s[2:3], vcc
	s_cbranch_execz .LBB3_26
; %bb.23:
	s_load_dwordx2 s[20:21], s[4:5], 0x38
	s_load_dwordx2 s[22:23], s[4:5], 0x28
	s_xor_b64 s[4:5], s[14:15], s[12:13]
	v_lshlrev_b64 v[0:1], 1, v[8:9]
	s_and_b64 s[4:5], s[4:5], exec
	s_waitcnt lgkmcnt(0)
	v_mov_b32_e32 v7, s21
	v_add_co_u32_e32 v8, vcc, s20, v0
	s_cselect_b32 s7, 1, s6
	s_xor_b64 s[4:5], s[18:19], s[16:17]
	v_addc_co_u32_e32 v9, vcc, v7, v1, vcc
	v_lshlrev_b64 v[0:1], 1, v[4:5]
	s_and_b64 s[4:5], s[4:5], exec
	v_mov_b32_e32 v4, s23
	v_add_co_u32_e32 v13, vcc, s22, v0
	s_cselect_b32 s4, s8, 1
	v_addc_co_u32_e32 v14, vcc, v4, v1, vcc
	v_mul_lo_u32 v0, s4, v6
	s_lshl_b32 s6, s4, 1
	v_mul_lo_u32 v4, s7, v6
	s_lshl_b32 s7, s7, 1
	s_mov_b64 s[4:5], 0
	v_mov_b32_e32 v7, 0
	v_mov_b32_e32 v15, v6
.LBB3_24:                               ; =>This Inner Loop Header: Depth=1
	v_ashrrev_i32_e32 v5, 31, v4
	v_lshlrev_b64 v[16:17], 1, v[4:5]
	v_add_co_u32_e32 v16, vcc, v13, v16
	v_addc_co_u32_e32 v17, vcc, v14, v17, vcc
	v_ashrrev_i32_e32 v1, 31, v0
	global_load_ushort v5, v[16:17], off
	v_lshlrev_b64 v[16:17], 1, v[0:1]
	v_add_co_u32_e32 v16, vcc, v8, v16
	v_addc_co_u32_e32 v17, vcc, v9, v17, vcc
	global_load_ushort v1, v[16:17], off
	v_add_u32_e32 v15, 2, v15
	v_cmp_le_i32_e32 vcc, s10, v15
	v_add_u32_e32 v0, s6, v0
	s_or_b64 s[4:5], vcc, s[4:5]
	v_add_u32_e32 v4, s7, v4
	s_waitcnt vmcnt(0)
	v_fma_f16 v7, v5, v1, v7
	s_andn2_b64 exec, exec, s[4:5]
	s_cbranch_execnz .LBB3_24
; %bb.25:
	s_or_b64 exec, exec, s[4:5]
.LBB3_26:
	s_or_b64 exec, exec, s[2:3]
	v_lshlrev_b32_e32 v0, 2, v12
	v_lshl_or_b32 v1, v6, 1, v0
	v_cmp_eq_u32_e32 vcc, 0, v6
	ds_write_b16 v1, v7
	s_waitcnt lgkmcnt(0)
	s_barrier
	s_and_saveexec_b64 s[2:3], vcc
	s_cbranch_execz .LBB3_28
; %bb.27:
	ds_read_u16 v4, v0 offset:2
	ds_read_u16 v5, v1
	s_waitcnt lgkmcnt(0)
	v_add_f16_e32 v4, v4, v5
	ds_write_b16 v1, v4
.LBB3_28:
	s_or_b64 exec, exec, s[2:3]
	s_waitcnt lgkmcnt(0)
	s_barrier
	s_and_b64 exec, exec, vcc
	s_cbranch_execz .LBB3_30
; %bb.29:
	v_lshlrev_b64 v[2:3], 1, v[2:3]
	v_mov_b32_e32 v1, s1
	v_add_co_u32_e32 v2, vcc, s0, v2
	v_addc_co_u32_e32 v3, vcc, v1, v3, vcc
	global_load_ushort v1, v[2:3], off
	ds_read_u16 v0, v0
	s_waitcnt lgkmcnt(0)
	v_mul_f16_e32 v0, v10, v0
	s_waitcnt vmcnt(0)
	v_fma_f16 v0, v11, v1, v0
	global_store_short v[2:3], v0, off
.LBB3_30:
	s_endpgm
	.section	.rodata,"a",@progbits
	.p2align	6, 0x0
	.amdhsa_kernel _ZN9rocsparseL17sddmm_coox_kernelILi512ELi2ELb0EDF16_iiDF16_DF16_DF16_EEv20rocsparse_operation_S1_16rocsparse_order_S2_T4_S3_S3_T3_NS_24const_host_device_scalarIT2_EEPKT5_lPKT6_lS7_PT7_PKS4_SH_21rocsparse_index_base_b
		.amdhsa_group_segment_fixed_size 1024
		.amdhsa_private_segment_fixed_size 0
		.amdhsa_kernarg_size 112
		.amdhsa_user_sgpr_count 6
		.amdhsa_user_sgpr_private_segment_buffer 1
		.amdhsa_user_sgpr_dispatch_ptr 0
		.amdhsa_user_sgpr_queue_ptr 0
		.amdhsa_user_sgpr_kernarg_segment_ptr 1
		.amdhsa_user_sgpr_dispatch_id 0
		.amdhsa_user_sgpr_flat_scratch_init 0
		.amdhsa_user_sgpr_kernarg_preload_length 0
		.amdhsa_user_sgpr_kernarg_preload_offset 0
		.amdhsa_user_sgpr_private_segment_size 0
		.amdhsa_uses_dynamic_stack 0
		.amdhsa_system_sgpr_private_segment_wavefront_offset 0
		.amdhsa_system_sgpr_workgroup_id_x 1
		.amdhsa_system_sgpr_workgroup_id_y 0
		.amdhsa_system_sgpr_workgroup_id_z 0
		.amdhsa_system_sgpr_workgroup_info 0
		.amdhsa_system_vgpr_workitem_id 0
		.amdhsa_next_free_vgpr 18
		.amdhsa_next_free_sgpr 24
		.amdhsa_accum_offset 20
		.amdhsa_reserve_vcc 1
		.amdhsa_reserve_flat_scratch 0
		.amdhsa_float_round_mode_32 0
		.amdhsa_float_round_mode_16_64 0
		.amdhsa_float_denorm_mode_32 3
		.amdhsa_float_denorm_mode_16_64 3
		.amdhsa_dx10_clamp 1
		.amdhsa_ieee_mode 1
		.amdhsa_fp16_overflow 0
		.amdhsa_tg_split 0
		.amdhsa_exception_fp_ieee_invalid_op 0
		.amdhsa_exception_fp_denorm_src 0
		.amdhsa_exception_fp_ieee_div_zero 0
		.amdhsa_exception_fp_ieee_overflow 0
		.amdhsa_exception_fp_ieee_underflow 0
		.amdhsa_exception_fp_ieee_inexact 0
		.amdhsa_exception_int_div_zero 0
	.end_amdhsa_kernel
	.section	.text._ZN9rocsparseL17sddmm_coox_kernelILi512ELi2ELb0EDF16_iiDF16_DF16_DF16_EEv20rocsparse_operation_S1_16rocsparse_order_S2_T4_S3_S3_T3_NS_24const_host_device_scalarIT2_EEPKT5_lPKT6_lS7_PT7_PKS4_SH_21rocsparse_index_base_b,"axG",@progbits,_ZN9rocsparseL17sddmm_coox_kernelILi512ELi2ELb0EDF16_iiDF16_DF16_DF16_EEv20rocsparse_operation_S1_16rocsparse_order_S2_T4_S3_S3_T3_NS_24const_host_device_scalarIT2_EEPKT5_lPKT6_lS7_PT7_PKS4_SH_21rocsparse_index_base_b,comdat
.Lfunc_end3:
	.size	_ZN9rocsparseL17sddmm_coox_kernelILi512ELi2ELb0EDF16_iiDF16_DF16_DF16_EEv20rocsparse_operation_S1_16rocsparse_order_S2_T4_S3_S3_T3_NS_24const_host_device_scalarIT2_EEPKT5_lPKT6_lS7_PT7_PKS4_SH_21rocsparse_index_base_b, .Lfunc_end3-_ZN9rocsparseL17sddmm_coox_kernelILi512ELi2ELb0EDF16_iiDF16_DF16_DF16_EEv20rocsparse_operation_S1_16rocsparse_order_S2_T4_S3_S3_T3_NS_24const_host_device_scalarIT2_EEPKT5_lPKT6_lS7_PT7_PKS4_SH_21rocsparse_index_base_b
                                        ; -- End function
	.section	.AMDGPU.csdata,"",@progbits
; Kernel info:
; codeLenInByte = 944
; NumSgprs: 28
; NumVgprs: 18
; NumAgprs: 0
; TotalNumVgprs: 18
; ScratchSize: 0
; MemoryBound: 0
; FloatMode: 240
; IeeeMode: 1
; LDSByteSize: 1024 bytes/workgroup (compile time only)
; SGPRBlocks: 3
; VGPRBlocks: 2
; NumSGPRsForWavesPerEU: 28
; NumVGPRsForWavesPerEU: 18
; AccumOffset: 20
; Occupancy: 8
; WaveLimiterHint : 0
; COMPUTE_PGM_RSRC2:SCRATCH_EN: 0
; COMPUTE_PGM_RSRC2:USER_SGPR: 6
; COMPUTE_PGM_RSRC2:TRAP_HANDLER: 0
; COMPUTE_PGM_RSRC2:TGID_X_EN: 1
; COMPUTE_PGM_RSRC2:TGID_Y_EN: 0
; COMPUTE_PGM_RSRC2:TGID_Z_EN: 0
; COMPUTE_PGM_RSRC2:TIDIG_COMP_CNT: 0
; COMPUTE_PGM_RSRC3_GFX90A:ACCUM_OFFSET: 4
; COMPUTE_PGM_RSRC3_GFX90A:TG_SPLIT: 0
	.section	.text._ZN9rocsparseL17sddmm_coox_kernelILi512ELi1ELb0EDF16_iiDF16_DF16_DF16_EEv20rocsparse_operation_S1_16rocsparse_order_S2_T4_S3_S3_T3_NS_24const_host_device_scalarIT2_EEPKT5_lPKT6_lS7_PT7_PKS4_SH_21rocsparse_index_base_b,"axG",@progbits,_ZN9rocsparseL17sddmm_coox_kernelILi512ELi1ELb0EDF16_iiDF16_DF16_DF16_EEv20rocsparse_operation_S1_16rocsparse_order_S2_T4_S3_S3_T3_NS_24const_host_device_scalarIT2_EEPKT5_lPKT6_lS7_PT7_PKS4_SH_21rocsparse_index_base_b,comdat
	.globl	_ZN9rocsparseL17sddmm_coox_kernelILi512ELi1ELb0EDF16_iiDF16_DF16_DF16_EEv20rocsparse_operation_S1_16rocsparse_order_S2_T4_S3_S3_T3_NS_24const_host_device_scalarIT2_EEPKT5_lPKT6_lS7_PT7_PKS4_SH_21rocsparse_index_base_b ; -- Begin function _ZN9rocsparseL17sddmm_coox_kernelILi512ELi1ELb0EDF16_iiDF16_DF16_DF16_EEv20rocsparse_operation_S1_16rocsparse_order_S2_T4_S3_S3_T3_NS_24const_host_device_scalarIT2_EEPKT5_lPKT6_lS7_PT7_PKS4_SH_21rocsparse_index_base_b
	.p2align	8
	.type	_ZN9rocsparseL17sddmm_coox_kernelILi512ELi1ELb0EDF16_iiDF16_DF16_DF16_EEv20rocsparse_operation_S1_16rocsparse_order_S2_T4_S3_S3_T3_NS_24const_host_device_scalarIT2_EEPKT5_lPKT6_lS7_PT7_PKS4_SH_21rocsparse_index_base_b,@function
_ZN9rocsparseL17sddmm_coox_kernelILi512ELi1ELb0EDF16_iiDF16_DF16_DF16_EEv20rocsparse_operation_S1_16rocsparse_order_S2_T4_S3_S3_T3_NS_24const_host_device_scalarIT2_EEPKT5_lPKT6_lS7_PT7_PKS4_SH_21rocsparse_index_base_b: ; @_ZN9rocsparseL17sddmm_coox_kernelILi512ELi1ELb0EDF16_iiDF16_DF16_DF16_EEv20rocsparse_operation_S1_16rocsparse_order_S2_T4_S3_S3_T3_NS_24const_host_device_scalarIT2_EEPKT5_lPKT6_lS7_PT7_PKS4_SH_21rocsparse_index_base_b
; %bb.0:
	s_load_dwordx2 s[16:17], s[4:5], 0x68
	s_load_dwordx2 s[2:3], s[4:5], 0x20
	s_load_dwordx4 s[8:11], s[4:5], 0x40
	s_waitcnt lgkmcnt(0)
	s_bitcmp1_b32 s17, 0
	s_cselect_b64 s[12:13], -1, 0
	s_xor_b64 s[0:1], s[12:13], -1
	s_and_b64 vcc, exec, s[12:13]
	v_mov_b32_e32 v1, s2
	s_cbranch_vccnz .LBB4_2
; %bb.1:
	v_mov_b32_e32 v1, 0
	global_load_ushort v1, v1, s[2:3]
.LBB4_2:
	s_andn2_b64 vcc, exec, s[0:1]
	v_mov_b32_e32 v10, s10
	s_cbranch_vccnz .LBB4_4
; %bb.3:
	v_mov_b32_e32 v2, 0
	global_load_ushort v10, v2, s[10:11]
.LBB4_4:
	s_waitcnt vmcnt(0)
	v_cmp_eq_f16_e32 vcc, 0, v1
	v_cmp_eq_f16_e64 s[0:1], 1.0, v10
	s_and_b64 s[0:1], vcc, s[0:1]
	s_and_b64 vcc, exec, s[0:1]
	s_cbranch_vccnz .LBB4_27
; %bb.5:
	s_load_dwordx2 s[10:11], s[4:5], 0x18
	v_lshl_or_b32 v2, s6, 9, v0
	s_waitcnt lgkmcnt(0)
	v_cmp_gt_i32_e32 vcc, s11, v2
	s_and_saveexec_b64 s[0:1], vcc
	s_cbranch_execz .LBB4_27
; %bb.6:
	s_load_dwordx4 s[0:3], s[4:5], 0x58
	v_ashrrev_i32_e32 v3, 31, v2
	v_lshlrev_b64 v[4:5], 2, v[2:3]
	s_waitcnt lgkmcnt(0)
	v_mov_b32_e32 v7, s1
	v_add_co_u32_e32 v6, vcc, s0, v4
	v_addc_co_u32_e32 v7, vcc, v7, v5, vcc
	global_load_dword v6, v[6:7], off
	v_mov_b32_e32 v7, s3
	v_add_co_u32_e32 v4, vcc, s2, v4
	v_addc_co_u32_e32 v5, vcc, v7, v5, vcc
	global_load_dword v8, v[4:5], off
	s_load_dwordx4 s[0:3], s[4:5], 0x0
	s_load_dwordx2 s[6:7], s[4:5], 0x30
	s_waitcnt lgkmcnt(0)
	s_cmp_eq_u32 s2, 1
	s_cselect_b64 s[12:13], -1, 0
	s_cmpk_eq_i32 s0, 0x6f
	s_cselect_b64 s[14:15], -1, 0
	s_cmpk_lg_i32 s0, 0x6f
	s_cselect_b64 s[18:19], -1, 0
	s_cmp_lg_u32 s2, 1
	s_waitcnt vmcnt(1)
	v_subrev_u32_e32 v6, s16, v6
	v_ashrrev_i32_e32 v7, 31, v6
	s_cbranch_scc0 .LBB4_10
; %bb.7:
	s_andn2_b64 vcc, exec, s[14:15]
	v_pk_mov_b32 v[4:5], v[6:7], v[6:7] op_sel:[0,1]
	s_cbranch_vccnz .LBB4_9
; %bb.8:
	v_mul_lo_u32 v9, v7, s6
	v_mul_lo_u32 v11, v6, s7
	v_mad_u64_u32 v[4:5], s[20:21], v6, s6, 0
	v_add3_u32 v5, v5, v11, v9
.LBB4_9:
	s_cbranch_execz .LBB4_11
	s_branch .LBB4_14
.LBB4_10:
                                        ; implicit-def: $vgpr4_vgpr5
.LBB4_11:
	s_andn2_b64 vcc, exec, s[18:19]
	s_cbranch_vccnz .LBB4_13
; %bb.12:
	v_mul_lo_u32 v4, v7, s6
	v_mul_lo_u32 v5, v6, s7
	v_mad_u64_u32 v[6:7], s[18:19], v6, s6, 0
	v_add3_u32 v7, v7, v5, v4
.LBB4_13:
	v_pk_mov_b32 v[4:5], v[6:7], v[6:7] op_sel:[0,1]
.LBB4_14:
	s_cmp_eq_u32 s3, 1
	s_waitcnt vmcnt(0)
	v_subrev_u32_e32 v6, s16, v8
	s_cselect_b64 s[16:17], -1, 0
	s_cmpk_eq_i32 s1, 0x6f
	s_cselect_b64 s[18:19], -1, 0
	s_cmpk_lg_i32 s1, 0x6f
	s_cselect_b64 s[0:1], -1, 0
	s_cmp_lg_u32 s3, 1
	v_ashrrev_i32_e32 v7, 31, v6
	s_cbranch_scc0 .LBB4_21
; %bb.15:
	s_andn2_b64 vcc, exec, s[0:1]
	v_pk_mov_b32 v[8:9], v[6:7], v[6:7] op_sel:[0,1]
	s_cbranch_vccnz .LBB4_17
; %bb.16:
	v_mul_lo_u32 v11, v7, s8
	v_mul_lo_u32 v12, v6, s9
	v_mad_u64_u32 v[8:9], s[0:1], v6, s8, 0
	v_add3_u32 v9, v9, v12, v11
.LBB4_17:
	s_cbranch_execz .LBB4_22
; %bb.18:
	s_load_dwordx2 s[0:1], s[4:5], 0x50
	s_cmp_lt_i32 s10, 1
	s_cbranch_scc1 .LBB4_25
.LBB4_19:
	s_load_dwordx2 s[2:3], s[4:5], 0x38
	s_load_dwordx2 s[20:21], s[4:5], 0x28
	v_lshlrev_b64 v[6:7], 1, v[8:9]
	v_lshlrev_b64 v[4:5], 1, v[4:5]
	s_waitcnt lgkmcnt(0)
	v_mov_b32_e32 v8, s3
	v_add_co_u32_e32 v6, vcc, s2, v6
	s_xor_b64 s[2:3], s[14:15], s[12:13]
	s_and_b64 s[2:3], s[2:3], exec
	s_cselect_b32 s4, 1, s6
	s_xor_b64 s[2:3], s[18:19], s[16:17]
	s_and_b64 s[2:3], s[2:3], exec
	s_cselect_b32 s2, s8, 1
	v_addc_co_u32_e32 v7, vcc, v8, v7, vcc
	s_ashr_i32 s3, s2, 31
	s_ashr_i32 s5, s4, 31
	v_mov_b32_e32 v8, s21
	v_add_co_u32_e32 v4, vcc, s20, v4
	s_lshl_b64 s[2:3], s[2:3], 1
	s_lshl_b64 s[4:5], s[4:5], 1
	v_addc_co_u32_e32 v5, vcc, v8, v5, vcc
	v_mov_b32_e32 v8, 0
	v_mov_b32_e32 v9, s3
	;; [unrolled: 1-line block ×3, first 2 shown]
.LBB4_20:                               ; =>This Inner Loop Header: Depth=1
	global_load_ushort v12, v[4:5], off
	global_load_ushort v13, v[6:7], off
	v_add_co_u32_e32 v6, vcc, s2, v6
	v_addc_co_u32_e32 v7, vcc, v7, v9, vcc
	s_add_i32 s10, s10, -1
	v_add_co_u32_e32 v4, vcc, s4, v4
	v_addc_co_u32_e32 v5, vcc, v5, v11, vcc
	s_cmp_eq_u32 s10, 0
	s_waitcnt vmcnt(0)
	v_fma_f16 v8, v12, v13, v8
	s_cbranch_scc0 .LBB4_20
	s_branch .LBB4_26
.LBB4_21:
                                        ; implicit-def: $vgpr8_vgpr9
.LBB4_22:
	s_andn2_b64 vcc, exec, s[18:19]
	s_cbranch_vccnz .LBB4_24
; %bb.23:
	v_mul_lo_u32 v8, v7, s8
	v_mul_lo_u32 v9, v6, s9
	v_mad_u64_u32 v[6:7], s[0:1], v6, s8, 0
	v_add3_u32 v7, v7, v9, v8
.LBB4_24:
	v_pk_mov_b32 v[8:9], v[6:7], v[6:7] op_sel:[0,1]
	s_load_dwordx2 s[0:1], s[4:5], 0x50
	s_cmp_lt_i32 s10, 1
	s_cbranch_scc0 .LBB4_19
.LBB4_25:
	v_mov_b32_e32 v8, 0
.LBB4_26:
	v_lshlrev_b64 v[2:3], 1, v[2:3]
	s_waitcnt lgkmcnt(0)
	v_mov_b32_e32 v4, s1
	v_add_co_u32_e32 v2, vcc, s0, v2
	v_lshlrev_b32_e32 v0, 1, v0
	v_addc_co_u32_e32 v3, vcc, v4, v3, vcc
	ds_write_b16 v0, v8
	s_waitcnt lgkmcnt(0)
	s_barrier
	global_load_ushort v4, v[2:3], off
	ds_read_u16 v0, v0
	s_waitcnt lgkmcnt(0)
	v_mul_f16_e32 v0, v1, v0
	s_waitcnt vmcnt(0)
	v_fma_f16 v0, v10, v4, v0
	global_store_short v[2:3], v0, off
.LBB4_27:
	s_endpgm
	.section	.rodata,"a",@progbits
	.p2align	6, 0x0
	.amdhsa_kernel _ZN9rocsparseL17sddmm_coox_kernelILi512ELi1ELb0EDF16_iiDF16_DF16_DF16_EEv20rocsparse_operation_S1_16rocsparse_order_S2_T4_S3_S3_T3_NS_24const_host_device_scalarIT2_EEPKT5_lPKT6_lS7_PT7_PKS4_SH_21rocsparse_index_base_b
		.amdhsa_group_segment_fixed_size 1024
		.amdhsa_private_segment_fixed_size 0
		.amdhsa_kernarg_size 112
		.amdhsa_user_sgpr_count 6
		.amdhsa_user_sgpr_private_segment_buffer 1
		.amdhsa_user_sgpr_dispatch_ptr 0
		.amdhsa_user_sgpr_queue_ptr 0
		.amdhsa_user_sgpr_kernarg_segment_ptr 1
		.amdhsa_user_sgpr_dispatch_id 0
		.amdhsa_user_sgpr_flat_scratch_init 0
		.amdhsa_user_sgpr_kernarg_preload_length 0
		.amdhsa_user_sgpr_kernarg_preload_offset 0
		.amdhsa_user_sgpr_private_segment_size 0
		.amdhsa_uses_dynamic_stack 0
		.amdhsa_system_sgpr_private_segment_wavefront_offset 0
		.amdhsa_system_sgpr_workgroup_id_x 1
		.amdhsa_system_sgpr_workgroup_id_y 0
		.amdhsa_system_sgpr_workgroup_id_z 0
		.amdhsa_system_sgpr_workgroup_info 0
		.amdhsa_system_vgpr_workitem_id 0
		.amdhsa_next_free_vgpr 14
		.amdhsa_next_free_sgpr 22
		.amdhsa_accum_offset 16
		.amdhsa_reserve_vcc 1
		.amdhsa_reserve_flat_scratch 0
		.amdhsa_float_round_mode_32 0
		.amdhsa_float_round_mode_16_64 0
		.amdhsa_float_denorm_mode_32 3
		.amdhsa_float_denorm_mode_16_64 3
		.amdhsa_dx10_clamp 1
		.amdhsa_ieee_mode 1
		.amdhsa_fp16_overflow 0
		.amdhsa_tg_split 0
		.amdhsa_exception_fp_ieee_invalid_op 0
		.amdhsa_exception_fp_denorm_src 0
		.amdhsa_exception_fp_ieee_div_zero 0
		.amdhsa_exception_fp_ieee_overflow 0
		.amdhsa_exception_fp_ieee_underflow 0
		.amdhsa_exception_fp_ieee_inexact 0
		.amdhsa_exception_int_div_zero 0
	.end_amdhsa_kernel
	.section	.text._ZN9rocsparseL17sddmm_coox_kernelILi512ELi1ELb0EDF16_iiDF16_DF16_DF16_EEv20rocsparse_operation_S1_16rocsparse_order_S2_T4_S3_S3_T3_NS_24const_host_device_scalarIT2_EEPKT5_lPKT6_lS7_PT7_PKS4_SH_21rocsparse_index_base_b,"axG",@progbits,_ZN9rocsparseL17sddmm_coox_kernelILi512ELi1ELb0EDF16_iiDF16_DF16_DF16_EEv20rocsparse_operation_S1_16rocsparse_order_S2_T4_S3_S3_T3_NS_24const_host_device_scalarIT2_EEPKT5_lPKT6_lS7_PT7_PKS4_SH_21rocsparse_index_base_b,comdat
.Lfunc_end4:
	.size	_ZN9rocsparseL17sddmm_coox_kernelILi512ELi1ELb0EDF16_iiDF16_DF16_DF16_EEv20rocsparse_operation_S1_16rocsparse_order_S2_T4_S3_S3_T3_NS_24const_host_device_scalarIT2_EEPKT5_lPKT6_lS7_PT7_PKS4_SH_21rocsparse_index_base_b, .Lfunc_end4-_ZN9rocsparseL17sddmm_coox_kernelILi512ELi1ELb0EDF16_iiDF16_DF16_DF16_EEv20rocsparse_operation_S1_16rocsparse_order_S2_T4_S3_S3_T3_NS_24const_host_device_scalarIT2_EEPKT5_lPKT6_lS7_PT7_PKS4_SH_21rocsparse_index_base_b
                                        ; -- End function
	.section	.AMDGPU.csdata,"",@progbits
; Kernel info:
; codeLenInByte = 824
; NumSgprs: 26
; NumVgprs: 14
; NumAgprs: 0
; TotalNumVgprs: 14
; ScratchSize: 0
; MemoryBound: 0
; FloatMode: 240
; IeeeMode: 1
; LDSByteSize: 1024 bytes/workgroup (compile time only)
; SGPRBlocks: 3
; VGPRBlocks: 1
; NumSGPRsForWavesPerEU: 26
; NumVGPRsForWavesPerEU: 14
; AccumOffset: 16
; Occupancy: 8
; WaveLimiterHint : 0
; COMPUTE_PGM_RSRC2:SCRATCH_EN: 0
; COMPUTE_PGM_RSRC2:USER_SGPR: 6
; COMPUTE_PGM_RSRC2:TRAP_HANDLER: 0
; COMPUTE_PGM_RSRC2:TGID_X_EN: 1
; COMPUTE_PGM_RSRC2:TGID_Y_EN: 0
; COMPUTE_PGM_RSRC2:TGID_Z_EN: 0
; COMPUTE_PGM_RSRC2:TIDIG_COMP_CNT: 0
; COMPUTE_PGM_RSRC3_GFX90A:ACCUM_OFFSET: 3
; COMPUTE_PGM_RSRC3_GFX90A:TG_SPLIT: 0
	.section	.text._ZN9rocsparseL24sddmm_coox_sample_kernelILi512ELb0EfiifEEvT3_S1_T2_PKT4_S1_PS3_PKS2_S8_21rocsparse_index_base_,"axG",@progbits,_ZN9rocsparseL24sddmm_coox_sample_kernelILi512ELb0EfiifEEvT3_S1_T2_PKT4_S1_PS3_PKS2_S8_21rocsparse_index_base_,comdat
	.globl	_ZN9rocsparseL24sddmm_coox_sample_kernelILi512ELb0EfiifEEvT3_S1_T2_PKT4_S1_PS3_PKS2_S8_21rocsparse_index_base_ ; -- Begin function _ZN9rocsparseL24sddmm_coox_sample_kernelILi512ELb0EfiifEEvT3_S1_T2_PKT4_S1_PS3_PKS2_S8_21rocsparse_index_base_
	.p2align	8
	.type	_ZN9rocsparseL24sddmm_coox_sample_kernelILi512ELb0EfiifEEvT3_S1_T2_PKT4_S1_PS3_PKS2_S8_21rocsparse_index_base_,@function
_ZN9rocsparseL24sddmm_coox_sample_kernelILi512ELb0EfiifEEvT3_S1_T2_PKT4_S1_PS3_PKS2_S8_21rocsparse_index_base_: ; @_ZN9rocsparseL24sddmm_coox_sample_kernelILi512ELb0EfiifEEvT3_S1_T2_PKT4_S1_PS3_PKS2_S8_21rocsparse_index_base_
; %bb.0:
	s_load_dword s10, s[4:5], 0x8
	v_lshl_or_b32 v0, s6, 9, v0
	s_waitcnt lgkmcnt(0)
	v_cmp_gt_u32_e32 vcc, s10, v0
	s_and_saveexec_b64 s[0:1], vcc
	s_cbranch_execz .LBB5_3
; %bb.1:
	s_load_dword s11, s[4:5], 0x38
	s_load_dword s13, s[4:5], 0x40
	s_load_dwordx4 s[0:3], s[4:5], 0x20
	s_load_dwordx2 s[6:7], s[4:5], 0x30
	s_load_dwordx2 s[8:9], s[4:5], 0x10
	s_load_dword s12, s[4:5], 0x18
	s_waitcnt lgkmcnt(0)
	s_lshl_b32 s13, s13, 9
	s_mov_b64 s[4:5], 0
	v_mov_b32_e32 v1, 0
	v_mov_b32_e32 v2, s3
	;; [unrolled: 1-line block ×5, first 2 shown]
.LBB5_2:                                ; =>This Inner Loop Header: Depth=1
	v_lshlrev_b64 v[6:7], 2, v[0:1]
	v_add_co_u32_e32 v8, vcc, s2, v6
	v_addc_co_u32_e32 v9, vcc, v2, v7, vcc
	v_add_co_u32_e32 v10, vcc, s6, v6
	v_addc_co_u32_e32 v11, vcc, v3, v7, vcc
	global_load_dword v12, v[8:9], off
	global_load_dword v13, v[10:11], off
	v_add_u32_e32 v0, s13, v0
	s_waitcnt vmcnt(1)
	v_subrev_u32_e32 v8, s11, v12
	s_waitcnt vmcnt(0)
	v_subrev_u32_e32 v9, s11, v13
	v_mad_u64_u32 v[8:9], s[14:15], v9, s12, v[8:9]
	v_ashrrev_i32_e32 v9, 31, v8
	v_lshlrev_b64 v[8:9], 2, v[8:9]
	v_add_co_u32_e32 v8, vcc, s8, v8
	v_addc_co_u32_e32 v9, vcc, v4, v9, vcc
	global_load_dword v8, v[8:9], off
	v_add_co_u32_e32 v6, vcc, s0, v6
	v_addc_co_u32_e32 v7, vcc, v5, v7, vcc
	v_cmp_le_u32_e32 vcc, s10, v0
	s_or_b64 s[4:5], vcc, s[4:5]
	s_waitcnt vmcnt(0)
	global_store_dword v[6:7], v8, off
	s_andn2_b64 exec, exec, s[4:5]
	s_cbranch_execnz .LBB5_2
.LBB5_3:
	s_endpgm
	.section	.rodata,"a",@progbits
	.p2align	6, 0x0
	.amdhsa_kernel _ZN9rocsparseL24sddmm_coox_sample_kernelILi512ELb0EfiifEEvT3_S1_T2_PKT4_S1_PS3_PKS2_S8_21rocsparse_index_base_
		.amdhsa_group_segment_fixed_size 0
		.amdhsa_private_segment_fixed_size 0
		.amdhsa_kernarg_size 320
		.amdhsa_user_sgpr_count 6
		.amdhsa_user_sgpr_private_segment_buffer 1
		.amdhsa_user_sgpr_dispatch_ptr 0
		.amdhsa_user_sgpr_queue_ptr 0
		.amdhsa_user_sgpr_kernarg_segment_ptr 1
		.amdhsa_user_sgpr_dispatch_id 0
		.amdhsa_user_sgpr_flat_scratch_init 0
		.amdhsa_user_sgpr_kernarg_preload_length 0
		.amdhsa_user_sgpr_kernarg_preload_offset 0
		.amdhsa_user_sgpr_private_segment_size 0
		.amdhsa_uses_dynamic_stack 0
		.amdhsa_system_sgpr_private_segment_wavefront_offset 0
		.amdhsa_system_sgpr_workgroup_id_x 1
		.amdhsa_system_sgpr_workgroup_id_y 0
		.amdhsa_system_sgpr_workgroup_id_z 0
		.amdhsa_system_sgpr_workgroup_info 0
		.amdhsa_system_vgpr_workitem_id 0
		.amdhsa_next_free_vgpr 14
		.amdhsa_next_free_sgpr 16
		.amdhsa_accum_offset 16
		.amdhsa_reserve_vcc 1
		.amdhsa_reserve_flat_scratch 0
		.amdhsa_float_round_mode_32 0
		.amdhsa_float_round_mode_16_64 0
		.amdhsa_float_denorm_mode_32 3
		.amdhsa_float_denorm_mode_16_64 3
		.amdhsa_dx10_clamp 1
		.amdhsa_ieee_mode 1
		.amdhsa_fp16_overflow 0
		.amdhsa_tg_split 0
		.amdhsa_exception_fp_ieee_invalid_op 0
		.amdhsa_exception_fp_denorm_src 0
		.amdhsa_exception_fp_ieee_div_zero 0
		.amdhsa_exception_fp_ieee_overflow 0
		.amdhsa_exception_fp_ieee_underflow 0
		.amdhsa_exception_fp_ieee_inexact 0
		.amdhsa_exception_int_div_zero 0
	.end_amdhsa_kernel
	.section	.text._ZN9rocsparseL24sddmm_coox_sample_kernelILi512ELb0EfiifEEvT3_S1_T2_PKT4_S1_PS3_PKS2_S8_21rocsparse_index_base_,"axG",@progbits,_ZN9rocsparseL24sddmm_coox_sample_kernelILi512ELb0EfiifEEvT3_S1_T2_PKT4_S1_PS3_PKS2_S8_21rocsparse_index_base_,comdat
.Lfunc_end5:
	.size	_ZN9rocsparseL24sddmm_coox_sample_kernelILi512ELb0EfiifEEvT3_S1_T2_PKT4_S1_PS3_PKS2_S8_21rocsparse_index_base_, .Lfunc_end5-_ZN9rocsparseL24sddmm_coox_sample_kernelILi512ELb0EfiifEEvT3_S1_T2_PKT4_S1_PS3_PKS2_S8_21rocsparse_index_base_
                                        ; -- End function
	.section	.AMDGPU.csdata,"",@progbits
; Kernel info:
; codeLenInByte = 248
; NumSgprs: 20
; NumVgprs: 14
; NumAgprs: 0
; TotalNumVgprs: 14
; ScratchSize: 0
; MemoryBound: 0
; FloatMode: 240
; IeeeMode: 1
; LDSByteSize: 0 bytes/workgroup (compile time only)
; SGPRBlocks: 2
; VGPRBlocks: 1
; NumSGPRsForWavesPerEU: 20
; NumVGPRsForWavesPerEU: 14
; AccumOffset: 16
; Occupancy: 8
; WaveLimiterHint : 1
; COMPUTE_PGM_RSRC2:SCRATCH_EN: 0
; COMPUTE_PGM_RSRC2:USER_SGPR: 6
; COMPUTE_PGM_RSRC2:TRAP_HANDLER: 0
; COMPUTE_PGM_RSRC2:TGID_X_EN: 1
; COMPUTE_PGM_RSRC2:TGID_Y_EN: 0
; COMPUTE_PGM_RSRC2:TGID_Z_EN: 0
; COMPUTE_PGM_RSRC2:TIDIG_COMP_CNT: 0
; COMPUTE_PGM_RSRC3_GFX90A:ACCUM_OFFSET: 3
; COMPUTE_PGM_RSRC3_GFX90A:TG_SPLIT: 0
	.section	.text._ZN9rocsparseL17sddmm_coox_kernelILi512ELi8ELb0EfiifffEEv20rocsparse_operation_S1_16rocsparse_order_S2_T4_S3_S3_T3_NS_24const_host_device_scalarIT2_EEPKT5_lPKT6_lS7_PT7_PKS4_SH_21rocsparse_index_base_b,"axG",@progbits,_ZN9rocsparseL17sddmm_coox_kernelILi512ELi8ELb0EfiifffEEv20rocsparse_operation_S1_16rocsparse_order_S2_T4_S3_S3_T3_NS_24const_host_device_scalarIT2_EEPKT5_lPKT6_lS7_PT7_PKS4_SH_21rocsparse_index_base_b,comdat
	.globl	_ZN9rocsparseL17sddmm_coox_kernelILi512ELi8ELb0EfiifffEEv20rocsparse_operation_S1_16rocsparse_order_S2_T4_S3_S3_T3_NS_24const_host_device_scalarIT2_EEPKT5_lPKT6_lS7_PT7_PKS4_SH_21rocsparse_index_base_b ; -- Begin function _ZN9rocsparseL17sddmm_coox_kernelILi512ELi8ELb0EfiifffEEv20rocsparse_operation_S1_16rocsparse_order_S2_T4_S3_S3_T3_NS_24const_host_device_scalarIT2_EEPKT5_lPKT6_lS7_PT7_PKS4_SH_21rocsparse_index_base_b
	.p2align	8
	.type	_ZN9rocsparseL17sddmm_coox_kernelILi512ELi8ELb0EfiifffEEv20rocsparse_operation_S1_16rocsparse_order_S2_T4_S3_S3_T3_NS_24const_host_device_scalarIT2_EEPKT5_lPKT6_lS7_PT7_PKS4_SH_21rocsparse_index_base_b,@function
_ZN9rocsparseL17sddmm_coox_kernelILi512ELi8ELb0EfiifffEEv20rocsparse_operation_S1_16rocsparse_order_S2_T4_S3_S3_T3_NS_24const_host_device_scalarIT2_EEPKT5_lPKT6_lS7_PT7_PKS4_SH_21rocsparse_index_base_b: ; @_ZN9rocsparseL17sddmm_coox_kernelILi512ELi8ELb0EfiifffEEv20rocsparse_operation_S1_16rocsparse_order_S2_T4_S3_S3_T3_NS_24const_host_device_scalarIT2_EEPKT5_lPKT6_lS7_PT7_PKS4_SH_21rocsparse_index_base_b
; %bb.0:
	s_load_dwordx2 s[20:21], s[4:5], 0x68
	s_load_dwordx2 s[12:13], s[4:5], 0x20
	s_load_dwordx4 s[0:3], s[4:5], 0x40
	s_waitcnt lgkmcnt(0)
	s_bitcmp1_b32 s21, 0
	s_cselect_b64 s[10:11], -1, 0
	s_xor_b64 s[8:9], s[10:11], -1
	s_and_b64 vcc, exec, s[10:11]
	s_cbranch_vccnz .LBB6_2
; %bb.1:
	s_load_dword s12, s[12:13], 0x0
.LBB6_2:
	s_andn2_b64 vcc, exec, s[8:9]
	s_cbranch_vccnz .LBB6_4
; %bb.3:
	s_load_dword s2, s[2:3], 0x0
.LBB6_4:
	s_waitcnt lgkmcnt(0)
	v_cmp_eq_f32_e64 s[8:9], s12, 0
	v_cmp_eq_f32_e64 s[10:11], s2, 1.0
	s_and_b64 s[8:9], s[8:9], s[10:11]
	s_and_b64 vcc, exec, s[8:9]
	s_cbranch_vccnz .LBB6_34
; %bb.5:
	s_load_dwordx2 s[14:15], s[4:5], 0x18
	v_lshrrev_b32_e32 v10, 3, v0
	v_lshl_or_b32 v2, s6, 6, v10
	s_waitcnt lgkmcnt(0)
	v_cmp_gt_i32_e32 vcc, s15, v2
	s_and_saveexec_b64 s[6:7], vcc
	s_cbranch_execz .LBB6_34
; %bb.6:
	s_load_dwordx4 s[8:11], s[4:5], 0x58
	v_ashrrev_i32_e32 v3, 31, v2
	v_lshlrev_b64 v[2:3], 2, v[2:3]
	s_waitcnt lgkmcnt(0)
	v_mov_b32_e32 v1, s9
	v_add_co_u32_e32 v4, vcc, s8, v2
	v_addc_co_u32_e32 v5, vcc, v1, v3, vcc
	global_load_dword v6, v[4:5], off
	v_mov_b32_e32 v1, s11
	v_add_co_u32_e32 v4, vcc, s10, v2
	v_addc_co_u32_e32 v5, vcc, v1, v3, vcc
	global_load_dword v1, v[4:5], off
	s_load_dwordx4 s[8:11], s[4:5], 0x0
	s_load_dwordx2 s[6:7], s[4:5], 0x30
	s_waitcnt lgkmcnt(0)
	s_cmp_eq_u32 s10, 1
	s_cselect_b64 s[16:17], -1, 0
	s_cmpk_eq_i32 s8, 0x6f
	s_cselect_b64 s[18:19], -1, 0
	s_cmpk_lg_i32 s8, 0x6f
	s_cselect_b64 s[22:23], -1, 0
	s_cmp_lg_u32 s10, 1
	s_waitcnt vmcnt(1)
	v_subrev_u32_e32 v6, s20, v6
	v_ashrrev_i32_e32 v7, 31, v6
	s_cbranch_scc0 .LBB6_10
; %bb.7:
	s_andn2_b64 vcc, exec, s[18:19]
	v_pk_mov_b32 v[4:5], v[6:7], v[6:7] op_sel:[0,1]
	s_cbranch_vccnz .LBB6_9
; %bb.8:
	v_mul_lo_u32 v8, v7, s6
	v_mul_lo_u32 v9, v6, s7
	v_mad_u64_u32 v[4:5], s[24:25], v6, s6, 0
	v_add3_u32 v5, v5, v9, v8
.LBB6_9:
	s_cbranch_execz .LBB6_11
	s_branch .LBB6_14
.LBB6_10:
                                        ; implicit-def: $vgpr4_vgpr5
.LBB6_11:
	s_andn2_b64 vcc, exec, s[22:23]
	s_cbranch_vccnz .LBB6_13
; %bb.12:
	v_mul_lo_u32 v4, v7, s6
	v_mul_lo_u32 v5, v6, s7
	v_mad_u64_u32 v[6:7], s[22:23], v6, s6, 0
	v_add3_u32 v7, v7, v5, v4
.LBB6_13:
	v_pk_mov_b32 v[4:5], v[6:7], v[6:7] op_sel:[0,1]
.LBB6_14:
	s_cmp_eq_u32 s11, 1
	s_waitcnt vmcnt(0)
	v_subrev_u32_e32 v6, s20, v1
	s_cselect_b64 s[20:21], -1, 0
	s_cmpk_eq_i32 s9, 0x6f
	s_cselect_b64 s[22:23], -1, 0
	s_cmpk_lg_i32 s9, 0x6f
	s_cselect_b64 s[8:9], -1, 0
	s_cmp_lg_u32 s11, 1
	v_ashrrev_i32_e32 v7, 31, v6
	s_cbranch_scc0 .LBB6_18
; %bb.15:
	s_andn2_b64 vcc, exec, s[8:9]
	v_pk_mov_b32 v[8:9], v[6:7], v[6:7] op_sel:[0,1]
	s_cbranch_vccnz .LBB6_17
; %bb.16:
	v_mul_lo_u32 v1, v7, s0
	v_mul_lo_u32 v11, v6, s1
	v_mad_u64_u32 v[8:9], s[8:9], v6, s0, 0
	v_add3_u32 v9, v9, v11, v1
.LBB6_17:
	s_cbranch_execz .LBB6_19
	s_branch .LBB6_22
.LBB6_18:
                                        ; implicit-def: $vgpr8_vgpr9
.LBB6_19:
	s_andn2_b64 vcc, exec, s[22:23]
	s_cbranch_vccnz .LBB6_21
; %bb.20:
	v_mul_lo_u32 v1, v7, s0
	v_mul_lo_u32 v8, v6, s1
	v_mad_u64_u32 v[6:7], s[8:9], v6, s0, 0
	v_add3_u32 v7, v7, v8, v1
.LBB6_21:
	v_pk_mov_b32 v[8:9], v[6:7], v[6:7] op_sel:[0,1]
.LBB6_22:
	s_load_dwordx2 s[8:9], s[4:5], 0x50
	v_and_b32_e32 v6, 7, v0
	v_cmp_gt_i32_e32 vcc, s14, v6
	v_mov_b32_e32 v7, 0
	s_and_saveexec_b64 s[10:11], vcc
	s_cbranch_execz .LBB6_26
; %bb.23:
	s_load_dwordx2 s[24:25], s[4:5], 0x38
	s_load_dwordx2 s[26:27], s[4:5], 0x28
	s_xor_b64 s[4:5], s[18:19], s[16:17]
	v_lshlrev_b64 v[0:1], 2, v[8:9]
	s_and_b64 s[4:5], s[4:5], exec
	s_waitcnt lgkmcnt(0)
	v_mov_b32_e32 v7, s25
	v_add_co_u32_e32 v8, vcc, s24, v0
	s_cselect_b32 s1, 1, s6
	s_xor_b64 s[4:5], s[22:23], s[20:21]
	v_addc_co_u32_e32 v9, vcc, v7, v1, vcc
	v_lshlrev_b64 v[0:1], 2, v[4:5]
	s_and_b64 s[4:5], s[4:5], exec
	v_mov_b32_e32 v4, s27
	v_add_co_u32_e32 v11, vcc, s26, v0
	s_cselect_b32 s0, s0, 1
	v_addc_co_u32_e32 v12, vcc, v4, v1, vcc
	v_mul_lo_u32 v0, s0, v6
	s_lshl_b32 s3, s0, 3
	v_mul_lo_u32 v4, s1, v6
	s_lshl_b32 s4, s1, 3
	s_mov_b64 s[0:1], 0
	v_mov_b32_e32 v7, 0
	v_mov_b32_e32 v13, v6
.LBB6_24:                               ; =>This Inner Loop Header: Depth=1
	v_ashrrev_i32_e32 v5, 31, v4
	v_lshlrev_b64 v[14:15], 2, v[4:5]
	v_add_co_u32_e32 v14, vcc, v11, v14
	v_addc_co_u32_e32 v15, vcc, v12, v15, vcc
	v_ashrrev_i32_e32 v1, 31, v0
	global_load_dword v5, v[14:15], off
	v_lshlrev_b64 v[14:15], 2, v[0:1]
	v_add_co_u32_e32 v14, vcc, v8, v14
	v_addc_co_u32_e32 v15, vcc, v9, v15, vcc
	global_load_dword v1, v[14:15], off
	v_add_u32_e32 v13, 8, v13
	v_cmp_le_i32_e32 vcc, s14, v13
	v_add_u32_e32 v0, s3, v0
	s_or_b64 s[0:1], vcc, s[0:1]
	v_add_u32_e32 v4, s4, v4
	s_waitcnt vmcnt(0)
	v_fmac_f32_e32 v7, v5, v1
	s_andn2_b64 exec, exec, s[0:1]
	s_cbranch_execnz .LBB6_24
; %bb.25:
	s_or_b64 exec, exec, s[0:1]
.LBB6_26:
	s_or_b64 exec, exec, s[10:11]
	v_lshlrev_b32_e32 v0, 2, v6
	v_lshl_or_b32 v0, v10, 5, v0
	v_cmp_gt_u32_e32 vcc, 4, v6
	ds_write_b32 v0, v7
	s_waitcnt lgkmcnt(0)
	s_barrier
	s_and_saveexec_b64 s[0:1], vcc
	s_cbranch_execz .LBB6_28
; %bb.27:
	ds_read2_b32 v[4:5], v0 offset1:4
	s_waitcnt lgkmcnt(0)
	v_add_f32_e32 v1, v5, v4
	ds_write_b32 v0, v1
.LBB6_28:
	s_or_b64 exec, exec, s[0:1]
	v_cmp_gt_u32_e32 vcc, 2, v6
	s_waitcnt lgkmcnt(0)
	s_barrier
	s_and_saveexec_b64 s[0:1], vcc
	s_cbranch_execz .LBB6_30
; %bb.29:
	ds_read2_b32 v[4:5], v0 offset1:2
	s_waitcnt lgkmcnt(0)
	v_add_f32_e32 v1, v5, v4
	ds_write_b32 v0, v1
.LBB6_30:
	s_or_b64 exec, exec, s[0:1]
	v_cmp_eq_u32_e32 vcc, 0, v6
	v_lshlrev_b32_e32 v1, 5, v10
	s_waitcnt lgkmcnt(0)
	s_barrier
	s_and_saveexec_b64 s[0:1], vcc
	s_cbranch_execz .LBB6_32
; %bb.31:
	ds_read_b32 v4, v1 offset:4
	ds_read_b32 v5, v0
	s_waitcnt lgkmcnt(0)
	v_add_f32_e32 v4, v4, v5
	ds_write_b32 v0, v4
.LBB6_32:
	s_or_b64 exec, exec, s[0:1]
	s_waitcnt lgkmcnt(0)
	s_barrier
	s_and_b64 exec, exec, vcc
	s_cbranch_execz .LBB6_34
; %bb.33:
	v_mov_b32_e32 v0, s9
	v_add_co_u32_e32 v2, vcc, s8, v2
	v_addc_co_u32_e32 v3, vcc, v0, v3, vcc
	global_load_dword v0, v[2:3], off
	ds_read_b32 v1, v1
	s_waitcnt lgkmcnt(0)
	v_mul_f32_e32 v1, s12, v1
	s_waitcnt vmcnt(0)
	v_fmac_f32_e32 v1, s2, v0
	global_store_dword v[2:3], v1, off
.LBB6_34:
	s_endpgm
	.section	.rodata,"a",@progbits
	.p2align	6, 0x0
	.amdhsa_kernel _ZN9rocsparseL17sddmm_coox_kernelILi512ELi8ELb0EfiifffEEv20rocsparse_operation_S1_16rocsparse_order_S2_T4_S3_S3_T3_NS_24const_host_device_scalarIT2_EEPKT5_lPKT6_lS7_PT7_PKS4_SH_21rocsparse_index_base_b
		.amdhsa_group_segment_fixed_size 2048
		.amdhsa_private_segment_fixed_size 0
		.amdhsa_kernarg_size 112
		.amdhsa_user_sgpr_count 6
		.amdhsa_user_sgpr_private_segment_buffer 1
		.amdhsa_user_sgpr_dispatch_ptr 0
		.amdhsa_user_sgpr_queue_ptr 0
		.amdhsa_user_sgpr_kernarg_segment_ptr 1
		.amdhsa_user_sgpr_dispatch_id 0
		.amdhsa_user_sgpr_flat_scratch_init 0
		.amdhsa_user_sgpr_kernarg_preload_length 0
		.amdhsa_user_sgpr_kernarg_preload_offset 0
		.amdhsa_user_sgpr_private_segment_size 0
		.amdhsa_uses_dynamic_stack 0
		.amdhsa_system_sgpr_private_segment_wavefront_offset 0
		.amdhsa_system_sgpr_workgroup_id_x 1
		.amdhsa_system_sgpr_workgroup_id_y 0
		.amdhsa_system_sgpr_workgroup_id_z 0
		.amdhsa_system_sgpr_workgroup_info 0
		.amdhsa_system_vgpr_workitem_id 0
		.amdhsa_next_free_vgpr 16
		.amdhsa_next_free_sgpr 28
		.amdhsa_accum_offset 16
		.amdhsa_reserve_vcc 1
		.amdhsa_reserve_flat_scratch 0
		.amdhsa_float_round_mode_32 0
		.amdhsa_float_round_mode_16_64 0
		.amdhsa_float_denorm_mode_32 3
		.amdhsa_float_denorm_mode_16_64 3
		.amdhsa_dx10_clamp 1
		.amdhsa_ieee_mode 1
		.amdhsa_fp16_overflow 0
		.amdhsa_tg_split 0
		.amdhsa_exception_fp_ieee_invalid_op 0
		.amdhsa_exception_fp_denorm_src 0
		.amdhsa_exception_fp_ieee_div_zero 0
		.amdhsa_exception_fp_ieee_overflow 0
		.amdhsa_exception_fp_ieee_underflow 0
		.amdhsa_exception_fp_ieee_inexact 0
		.amdhsa_exception_int_div_zero 0
	.end_amdhsa_kernel
	.section	.text._ZN9rocsparseL17sddmm_coox_kernelILi512ELi8ELb0EfiifffEEv20rocsparse_operation_S1_16rocsparse_order_S2_T4_S3_S3_T3_NS_24const_host_device_scalarIT2_EEPKT5_lPKT6_lS7_PT7_PKS4_SH_21rocsparse_index_base_b,"axG",@progbits,_ZN9rocsparseL17sddmm_coox_kernelILi512ELi8ELb0EfiifffEEv20rocsparse_operation_S1_16rocsparse_order_S2_T4_S3_S3_T3_NS_24const_host_device_scalarIT2_EEPKT5_lPKT6_lS7_PT7_PKS4_SH_21rocsparse_index_base_b,comdat
.Lfunc_end6:
	.size	_ZN9rocsparseL17sddmm_coox_kernelILi512ELi8ELb0EfiifffEEv20rocsparse_operation_S1_16rocsparse_order_S2_T4_S3_S3_T3_NS_24const_host_device_scalarIT2_EEPKT5_lPKT6_lS7_PT7_PKS4_SH_21rocsparse_index_base_b, .Lfunc_end6-_ZN9rocsparseL17sddmm_coox_kernelILi512ELi8ELb0EfiifffEEv20rocsparse_operation_S1_16rocsparse_order_S2_T4_S3_S3_T3_NS_24const_host_device_scalarIT2_EEPKT5_lPKT6_lS7_PT7_PKS4_SH_21rocsparse_index_base_b
                                        ; -- End function
	.section	.AMDGPU.csdata,"",@progbits
; Kernel info:
; codeLenInByte = 1016
; NumSgprs: 32
; NumVgprs: 16
; NumAgprs: 0
; TotalNumVgprs: 16
; ScratchSize: 0
; MemoryBound: 0
; FloatMode: 240
; IeeeMode: 1
; LDSByteSize: 2048 bytes/workgroup (compile time only)
; SGPRBlocks: 3
; VGPRBlocks: 1
; NumSGPRsForWavesPerEU: 32
; NumVGPRsForWavesPerEU: 16
; AccumOffset: 16
; Occupancy: 8
; WaveLimiterHint : 0
; COMPUTE_PGM_RSRC2:SCRATCH_EN: 0
; COMPUTE_PGM_RSRC2:USER_SGPR: 6
; COMPUTE_PGM_RSRC2:TRAP_HANDLER: 0
; COMPUTE_PGM_RSRC2:TGID_X_EN: 1
; COMPUTE_PGM_RSRC2:TGID_Y_EN: 0
; COMPUTE_PGM_RSRC2:TGID_Z_EN: 0
; COMPUTE_PGM_RSRC2:TIDIG_COMP_CNT: 0
; COMPUTE_PGM_RSRC3_GFX90A:ACCUM_OFFSET: 3
; COMPUTE_PGM_RSRC3_GFX90A:TG_SPLIT: 0
	.section	.text._ZN9rocsparseL17sddmm_coox_kernelILi512ELi4ELb0EfiifffEEv20rocsparse_operation_S1_16rocsparse_order_S2_T4_S3_S3_T3_NS_24const_host_device_scalarIT2_EEPKT5_lPKT6_lS7_PT7_PKS4_SH_21rocsparse_index_base_b,"axG",@progbits,_ZN9rocsparseL17sddmm_coox_kernelILi512ELi4ELb0EfiifffEEv20rocsparse_operation_S1_16rocsparse_order_S2_T4_S3_S3_T3_NS_24const_host_device_scalarIT2_EEPKT5_lPKT6_lS7_PT7_PKS4_SH_21rocsparse_index_base_b,comdat
	.globl	_ZN9rocsparseL17sddmm_coox_kernelILi512ELi4ELb0EfiifffEEv20rocsparse_operation_S1_16rocsparse_order_S2_T4_S3_S3_T3_NS_24const_host_device_scalarIT2_EEPKT5_lPKT6_lS7_PT7_PKS4_SH_21rocsparse_index_base_b ; -- Begin function _ZN9rocsparseL17sddmm_coox_kernelILi512ELi4ELb0EfiifffEEv20rocsparse_operation_S1_16rocsparse_order_S2_T4_S3_S3_T3_NS_24const_host_device_scalarIT2_EEPKT5_lPKT6_lS7_PT7_PKS4_SH_21rocsparse_index_base_b
	.p2align	8
	.type	_ZN9rocsparseL17sddmm_coox_kernelILi512ELi4ELb0EfiifffEEv20rocsparse_operation_S1_16rocsparse_order_S2_T4_S3_S3_T3_NS_24const_host_device_scalarIT2_EEPKT5_lPKT6_lS7_PT7_PKS4_SH_21rocsparse_index_base_b,@function
_ZN9rocsparseL17sddmm_coox_kernelILi512ELi4ELb0EfiifffEEv20rocsparse_operation_S1_16rocsparse_order_S2_T4_S3_S3_T3_NS_24const_host_device_scalarIT2_EEPKT5_lPKT6_lS7_PT7_PKS4_SH_21rocsparse_index_base_b: ; @_ZN9rocsparseL17sddmm_coox_kernelILi512ELi4ELb0EfiifffEEv20rocsparse_operation_S1_16rocsparse_order_S2_T4_S3_S3_T3_NS_24const_host_device_scalarIT2_EEPKT5_lPKT6_lS7_PT7_PKS4_SH_21rocsparse_index_base_b
; %bb.0:
	s_load_dwordx2 s[20:21], s[4:5], 0x68
	s_load_dwordx2 s[12:13], s[4:5], 0x20
	s_load_dwordx4 s[0:3], s[4:5], 0x40
	s_waitcnt lgkmcnt(0)
	s_bitcmp1_b32 s21, 0
	s_cselect_b64 s[10:11], -1, 0
	s_xor_b64 s[8:9], s[10:11], -1
	s_and_b64 vcc, exec, s[10:11]
	s_cbranch_vccnz .LBB7_2
; %bb.1:
	s_load_dword s12, s[12:13], 0x0
.LBB7_2:
	s_andn2_b64 vcc, exec, s[8:9]
	s_cbranch_vccnz .LBB7_4
; %bb.3:
	s_load_dword s2, s[2:3], 0x0
.LBB7_4:
	s_waitcnt lgkmcnt(0)
	v_cmp_eq_f32_e64 s[8:9], s12, 0
	v_cmp_eq_f32_e64 s[10:11], s2, 1.0
	s_and_b64 s[8:9], s[8:9], s[10:11]
	s_and_b64 vcc, exec, s[8:9]
	s_cbranch_vccnz .LBB7_32
; %bb.5:
	s_load_dwordx2 s[14:15], s[4:5], 0x18
	v_lshrrev_b32_e32 v10, 2, v0
	v_lshl_or_b32 v2, s6, 7, v10
	s_waitcnt lgkmcnt(0)
	v_cmp_gt_i32_e32 vcc, s15, v2
	s_and_saveexec_b64 s[6:7], vcc
	s_cbranch_execz .LBB7_32
; %bb.6:
	s_load_dwordx4 s[8:11], s[4:5], 0x58
	v_ashrrev_i32_e32 v3, 31, v2
	v_lshlrev_b64 v[2:3], 2, v[2:3]
	s_waitcnt lgkmcnt(0)
	v_mov_b32_e32 v1, s9
	v_add_co_u32_e32 v4, vcc, s8, v2
	v_addc_co_u32_e32 v5, vcc, v1, v3, vcc
	global_load_dword v6, v[4:5], off
	v_mov_b32_e32 v1, s11
	v_add_co_u32_e32 v4, vcc, s10, v2
	v_addc_co_u32_e32 v5, vcc, v1, v3, vcc
	global_load_dword v1, v[4:5], off
	s_load_dwordx4 s[8:11], s[4:5], 0x0
	s_load_dwordx2 s[6:7], s[4:5], 0x30
	s_waitcnt lgkmcnt(0)
	s_cmp_eq_u32 s10, 1
	s_cselect_b64 s[16:17], -1, 0
	s_cmpk_eq_i32 s8, 0x6f
	s_cselect_b64 s[18:19], -1, 0
	s_cmpk_lg_i32 s8, 0x6f
	s_cselect_b64 s[22:23], -1, 0
	s_cmp_lg_u32 s10, 1
	s_waitcnt vmcnt(1)
	v_subrev_u32_e32 v6, s20, v6
	v_ashrrev_i32_e32 v7, 31, v6
	s_cbranch_scc0 .LBB7_10
; %bb.7:
	s_andn2_b64 vcc, exec, s[18:19]
	v_pk_mov_b32 v[4:5], v[6:7], v[6:7] op_sel:[0,1]
	s_cbranch_vccnz .LBB7_9
; %bb.8:
	v_mul_lo_u32 v8, v7, s6
	v_mul_lo_u32 v9, v6, s7
	v_mad_u64_u32 v[4:5], s[24:25], v6, s6, 0
	v_add3_u32 v5, v5, v9, v8
.LBB7_9:
	s_cbranch_execz .LBB7_11
	s_branch .LBB7_14
.LBB7_10:
                                        ; implicit-def: $vgpr4_vgpr5
.LBB7_11:
	s_andn2_b64 vcc, exec, s[22:23]
	s_cbranch_vccnz .LBB7_13
; %bb.12:
	v_mul_lo_u32 v4, v7, s6
	v_mul_lo_u32 v5, v6, s7
	v_mad_u64_u32 v[6:7], s[22:23], v6, s6, 0
	v_add3_u32 v7, v7, v5, v4
.LBB7_13:
	v_pk_mov_b32 v[4:5], v[6:7], v[6:7] op_sel:[0,1]
.LBB7_14:
	s_cmp_eq_u32 s11, 1
	s_waitcnt vmcnt(0)
	v_subrev_u32_e32 v6, s20, v1
	s_cselect_b64 s[20:21], -1, 0
	s_cmpk_eq_i32 s9, 0x6f
	s_cselect_b64 s[22:23], -1, 0
	s_cmpk_lg_i32 s9, 0x6f
	s_cselect_b64 s[8:9], -1, 0
	s_cmp_lg_u32 s11, 1
	v_ashrrev_i32_e32 v7, 31, v6
	s_cbranch_scc0 .LBB7_18
; %bb.15:
	s_andn2_b64 vcc, exec, s[8:9]
	v_pk_mov_b32 v[8:9], v[6:7], v[6:7] op_sel:[0,1]
	s_cbranch_vccnz .LBB7_17
; %bb.16:
	v_mul_lo_u32 v1, v7, s0
	v_mul_lo_u32 v11, v6, s1
	v_mad_u64_u32 v[8:9], s[8:9], v6, s0, 0
	v_add3_u32 v9, v9, v11, v1
.LBB7_17:
	s_cbranch_execz .LBB7_19
	s_branch .LBB7_22
.LBB7_18:
                                        ; implicit-def: $vgpr8_vgpr9
.LBB7_19:
	s_andn2_b64 vcc, exec, s[22:23]
	s_cbranch_vccnz .LBB7_21
; %bb.20:
	v_mul_lo_u32 v1, v7, s0
	v_mul_lo_u32 v8, v6, s1
	v_mad_u64_u32 v[6:7], s[8:9], v6, s0, 0
	v_add3_u32 v7, v7, v8, v1
.LBB7_21:
	v_pk_mov_b32 v[8:9], v[6:7], v[6:7] op_sel:[0,1]
.LBB7_22:
	s_load_dwordx2 s[8:9], s[4:5], 0x50
	v_and_b32_e32 v6, 3, v0
	v_cmp_gt_i32_e32 vcc, s14, v6
	v_mov_b32_e32 v7, 0
	s_and_saveexec_b64 s[10:11], vcc
	s_cbranch_execz .LBB7_26
; %bb.23:
	s_load_dwordx2 s[24:25], s[4:5], 0x38
	s_load_dwordx2 s[26:27], s[4:5], 0x28
	s_xor_b64 s[4:5], s[18:19], s[16:17]
	v_lshlrev_b64 v[0:1], 2, v[8:9]
	s_and_b64 s[4:5], s[4:5], exec
	s_waitcnt lgkmcnt(0)
	v_mov_b32_e32 v7, s25
	v_add_co_u32_e32 v8, vcc, s24, v0
	s_cselect_b32 s1, 1, s6
	s_xor_b64 s[4:5], s[22:23], s[20:21]
	v_addc_co_u32_e32 v9, vcc, v7, v1, vcc
	v_lshlrev_b64 v[0:1], 2, v[4:5]
	s_and_b64 s[4:5], s[4:5], exec
	v_mov_b32_e32 v4, s27
	v_add_co_u32_e32 v11, vcc, s26, v0
	s_cselect_b32 s0, s0, 1
	v_addc_co_u32_e32 v12, vcc, v4, v1, vcc
	v_mul_lo_u32 v0, s0, v6
	s_lshl_b32 s3, s0, 2
	v_mul_lo_u32 v4, s1, v6
	s_lshl_b32 s4, s1, 2
	s_mov_b64 s[0:1], 0
	v_mov_b32_e32 v7, 0
	v_mov_b32_e32 v13, v6
.LBB7_24:                               ; =>This Inner Loop Header: Depth=1
	v_ashrrev_i32_e32 v5, 31, v4
	v_lshlrev_b64 v[14:15], 2, v[4:5]
	v_add_co_u32_e32 v14, vcc, v11, v14
	v_addc_co_u32_e32 v15, vcc, v12, v15, vcc
	v_ashrrev_i32_e32 v1, 31, v0
	global_load_dword v5, v[14:15], off
	v_lshlrev_b64 v[14:15], 2, v[0:1]
	v_add_co_u32_e32 v14, vcc, v8, v14
	v_addc_co_u32_e32 v15, vcc, v9, v15, vcc
	global_load_dword v1, v[14:15], off
	v_add_u32_e32 v13, 4, v13
	v_cmp_le_i32_e32 vcc, s14, v13
	v_add_u32_e32 v0, s3, v0
	s_or_b64 s[0:1], vcc, s[0:1]
	v_add_u32_e32 v4, s4, v4
	s_waitcnt vmcnt(0)
	v_fmac_f32_e32 v7, v5, v1
	s_andn2_b64 exec, exec, s[0:1]
	s_cbranch_execnz .LBB7_24
; %bb.25:
	s_or_b64 exec, exec, s[0:1]
.LBB7_26:
	s_or_b64 exec, exec, s[10:11]
	v_lshlrev_b32_e32 v0, 2, v6
	v_lshl_or_b32 v0, v10, 4, v0
	v_cmp_gt_u32_e32 vcc, 2, v6
	ds_write_b32 v0, v7
	s_waitcnt lgkmcnt(0)
	s_barrier
	s_and_saveexec_b64 s[0:1], vcc
	s_cbranch_execz .LBB7_28
; %bb.27:
	ds_read2_b32 v[4:5], v0 offset1:2
	s_waitcnt lgkmcnt(0)
	v_add_f32_e32 v1, v5, v4
	ds_write_b32 v0, v1
.LBB7_28:
	s_or_b64 exec, exec, s[0:1]
	v_cmp_eq_u32_e32 vcc, 0, v6
	v_lshlrev_b32_e32 v1, 4, v10
	s_waitcnt lgkmcnt(0)
	s_barrier
	s_and_saveexec_b64 s[0:1], vcc
	s_cbranch_execz .LBB7_30
; %bb.29:
	ds_read_b32 v4, v1 offset:4
	ds_read_b32 v5, v0
	s_waitcnt lgkmcnt(0)
	v_add_f32_e32 v4, v4, v5
	ds_write_b32 v0, v4
.LBB7_30:
	s_or_b64 exec, exec, s[0:1]
	s_waitcnt lgkmcnt(0)
	s_barrier
	s_and_b64 exec, exec, vcc
	s_cbranch_execz .LBB7_32
; %bb.31:
	v_mov_b32_e32 v0, s9
	v_add_co_u32_e32 v2, vcc, s8, v2
	v_addc_co_u32_e32 v3, vcc, v0, v3, vcc
	global_load_dword v0, v[2:3], off
	ds_read_b32 v1, v1
	s_waitcnt lgkmcnt(0)
	v_mul_f32_e32 v1, s12, v1
	s_waitcnt vmcnt(0)
	v_fmac_f32_e32 v1, s2, v0
	global_store_dword v[2:3], v1, off
.LBB7_32:
	s_endpgm
	.section	.rodata,"a",@progbits
	.p2align	6, 0x0
	.amdhsa_kernel _ZN9rocsparseL17sddmm_coox_kernelILi512ELi4ELb0EfiifffEEv20rocsparse_operation_S1_16rocsparse_order_S2_T4_S3_S3_T3_NS_24const_host_device_scalarIT2_EEPKT5_lPKT6_lS7_PT7_PKS4_SH_21rocsparse_index_base_b
		.amdhsa_group_segment_fixed_size 2048
		.amdhsa_private_segment_fixed_size 0
		.amdhsa_kernarg_size 112
		.amdhsa_user_sgpr_count 6
		.amdhsa_user_sgpr_private_segment_buffer 1
		.amdhsa_user_sgpr_dispatch_ptr 0
		.amdhsa_user_sgpr_queue_ptr 0
		.amdhsa_user_sgpr_kernarg_segment_ptr 1
		.amdhsa_user_sgpr_dispatch_id 0
		.amdhsa_user_sgpr_flat_scratch_init 0
		.amdhsa_user_sgpr_kernarg_preload_length 0
		.amdhsa_user_sgpr_kernarg_preload_offset 0
		.amdhsa_user_sgpr_private_segment_size 0
		.amdhsa_uses_dynamic_stack 0
		.amdhsa_system_sgpr_private_segment_wavefront_offset 0
		.amdhsa_system_sgpr_workgroup_id_x 1
		.amdhsa_system_sgpr_workgroup_id_y 0
		.amdhsa_system_sgpr_workgroup_id_z 0
		.amdhsa_system_sgpr_workgroup_info 0
		.amdhsa_system_vgpr_workitem_id 0
		.amdhsa_next_free_vgpr 16
		.amdhsa_next_free_sgpr 28
		.amdhsa_accum_offset 16
		.amdhsa_reserve_vcc 1
		.amdhsa_reserve_flat_scratch 0
		.amdhsa_float_round_mode_32 0
		.amdhsa_float_round_mode_16_64 0
		.amdhsa_float_denorm_mode_32 3
		.amdhsa_float_denorm_mode_16_64 3
		.amdhsa_dx10_clamp 1
		.amdhsa_ieee_mode 1
		.amdhsa_fp16_overflow 0
		.amdhsa_tg_split 0
		.amdhsa_exception_fp_ieee_invalid_op 0
		.amdhsa_exception_fp_denorm_src 0
		.amdhsa_exception_fp_ieee_div_zero 0
		.amdhsa_exception_fp_ieee_overflow 0
		.amdhsa_exception_fp_ieee_underflow 0
		.amdhsa_exception_fp_ieee_inexact 0
		.amdhsa_exception_int_div_zero 0
	.end_amdhsa_kernel
	.section	.text._ZN9rocsparseL17sddmm_coox_kernelILi512ELi4ELb0EfiifffEEv20rocsparse_operation_S1_16rocsparse_order_S2_T4_S3_S3_T3_NS_24const_host_device_scalarIT2_EEPKT5_lPKT6_lS7_PT7_PKS4_SH_21rocsparse_index_base_b,"axG",@progbits,_ZN9rocsparseL17sddmm_coox_kernelILi512ELi4ELb0EfiifffEEv20rocsparse_operation_S1_16rocsparse_order_S2_T4_S3_S3_T3_NS_24const_host_device_scalarIT2_EEPKT5_lPKT6_lS7_PT7_PKS4_SH_21rocsparse_index_base_b,comdat
.Lfunc_end7:
	.size	_ZN9rocsparseL17sddmm_coox_kernelILi512ELi4ELb0EfiifffEEv20rocsparse_operation_S1_16rocsparse_order_S2_T4_S3_S3_T3_NS_24const_host_device_scalarIT2_EEPKT5_lPKT6_lS7_PT7_PKS4_SH_21rocsparse_index_base_b, .Lfunc_end7-_ZN9rocsparseL17sddmm_coox_kernelILi512ELi4ELb0EfiifffEEv20rocsparse_operation_S1_16rocsparse_order_S2_T4_S3_S3_T3_NS_24const_host_device_scalarIT2_EEPKT5_lPKT6_lS7_PT7_PKS4_SH_21rocsparse_index_base_b
                                        ; -- End function
	.section	.AMDGPU.csdata,"",@progbits
; Kernel info:
; codeLenInByte = 968
; NumSgprs: 32
; NumVgprs: 16
; NumAgprs: 0
; TotalNumVgprs: 16
; ScratchSize: 0
; MemoryBound: 0
; FloatMode: 240
; IeeeMode: 1
; LDSByteSize: 2048 bytes/workgroup (compile time only)
; SGPRBlocks: 3
; VGPRBlocks: 1
; NumSGPRsForWavesPerEU: 32
; NumVGPRsForWavesPerEU: 16
; AccumOffset: 16
; Occupancy: 8
; WaveLimiterHint : 0
; COMPUTE_PGM_RSRC2:SCRATCH_EN: 0
; COMPUTE_PGM_RSRC2:USER_SGPR: 6
; COMPUTE_PGM_RSRC2:TRAP_HANDLER: 0
; COMPUTE_PGM_RSRC2:TGID_X_EN: 1
; COMPUTE_PGM_RSRC2:TGID_Y_EN: 0
; COMPUTE_PGM_RSRC2:TGID_Z_EN: 0
; COMPUTE_PGM_RSRC2:TIDIG_COMP_CNT: 0
; COMPUTE_PGM_RSRC3_GFX90A:ACCUM_OFFSET: 3
; COMPUTE_PGM_RSRC3_GFX90A:TG_SPLIT: 0
	.section	.text._ZN9rocsparseL17sddmm_coox_kernelILi512ELi2ELb0EfiifffEEv20rocsparse_operation_S1_16rocsparse_order_S2_T4_S3_S3_T3_NS_24const_host_device_scalarIT2_EEPKT5_lPKT6_lS7_PT7_PKS4_SH_21rocsparse_index_base_b,"axG",@progbits,_ZN9rocsparseL17sddmm_coox_kernelILi512ELi2ELb0EfiifffEEv20rocsparse_operation_S1_16rocsparse_order_S2_T4_S3_S3_T3_NS_24const_host_device_scalarIT2_EEPKT5_lPKT6_lS7_PT7_PKS4_SH_21rocsparse_index_base_b,comdat
	.globl	_ZN9rocsparseL17sddmm_coox_kernelILi512ELi2ELb0EfiifffEEv20rocsparse_operation_S1_16rocsparse_order_S2_T4_S3_S3_T3_NS_24const_host_device_scalarIT2_EEPKT5_lPKT6_lS7_PT7_PKS4_SH_21rocsparse_index_base_b ; -- Begin function _ZN9rocsparseL17sddmm_coox_kernelILi512ELi2ELb0EfiifffEEv20rocsparse_operation_S1_16rocsparse_order_S2_T4_S3_S3_T3_NS_24const_host_device_scalarIT2_EEPKT5_lPKT6_lS7_PT7_PKS4_SH_21rocsparse_index_base_b
	.p2align	8
	.type	_ZN9rocsparseL17sddmm_coox_kernelILi512ELi2ELb0EfiifffEEv20rocsparse_operation_S1_16rocsparse_order_S2_T4_S3_S3_T3_NS_24const_host_device_scalarIT2_EEPKT5_lPKT6_lS7_PT7_PKS4_SH_21rocsparse_index_base_b,@function
_ZN9rocsparseL17sddmm_coox_kernelILi512ELi2ELb0EfiifffEEv20rocsparse_operation_S1_16rocsparse_order_S2_T4_S3_S3_T3_NS_24const_host_device_scalarIT2_EEPKT5_lPKT6_lS7_PT7_PKS4_SH_21rocsparse_index_base_b: ; @_ZN9rocsparseL17sddmm_coox_kernelILi512ELi2ELb0EfiifffEEv20rocsparse_operation_S1_16rocsparse_order_S2_T4_S3_S3_T3_NS_24const_host_device_scalarIT2_EEPKT5_lPKT6_lS7_PT7_PKS4_SH_21rocsparse_index_base_b
; %bb.0:
	s_load_dwordx2 s[20:21], s[4:5], 0x68
	s_load_dwordx2 s[12:13], s[4:5], 0x20
	s_load_dwordx4 s[0:3], s[4:5], 0x40
	s_waitcnt lgkmcnt(0)
	s_bitcmp1_b32 s21, 0
	s_cselect_b64 s[10:11], -1, 0
	s_xor_b64 s[8:9], s[10:11], -1
	s_and_b64 vcc, exec, s[10:11]
	s_cbranch_vccnz .LBB8_2
; %bb.1:
	s_load_dword s12, s[12:13], 0x0
.LBB8_2:
	s_andn2_b64 vcc, exec, s[8:9]
	s_cbranch_vccnz .LBB8_4
; %bb.3:
	s_load_dword s2, s[2:3], 0x0
.LBB8_4:
	s_waitcnt lgkmcnt(0)
	v_cmp_eq_f32_e64 s[8:9], s12, 0
	v_cmp_eq_f32_e64 s[10:11], s2, 1.0
	s_and_b64 s[8:9], s[8:9], s[10:11]
	s_and_b64 vcc, exec, s[8:9]
	s_cbranch_vccnz .LBB8_30
; %bb.5:
	s_load_dwordx2 s[14:15], s[4:5], 0x18
	v_lshrrev_b32_e32 v10, 1, v0
	v_lshl_or_b32 v2, s6, 8, v10
	s_waitcnt lgkmcnt(0)
	v_cmp_gt_i32_e32 vcc, s15, v2
	s_and_saveexec_b64 s[6:7], vcc
	s_cbranch_execz .LBB8_30
; %bb.6:
	s_load_dwordx4 s[8:11], s[4:5], 0x58
	v_ashrrev_i32_e32 v3, 31, v2
	v_lshlrev_b64 v[2:3], 2, v[2:3]
	s_waitcnt lgkmcnt(0)
	v_mov_b32_e32 v1, s9
	v_add_co_u32_e32 v4, vcc, s8, v2
	v_addc_co_u32_e32 v5, vcc, v1, v3, vcc
	global_load_dword v6, v[4:5], off
	v_mov_b32_e32 v1, s11
	v_add_co_u32_e32 v4, vcc, s10, v2
	v_addc_co_u32_e32 v5, vcc, v1, v3, vcc
	global_load_dword v1, v[4:5], off
	s_load_dwordx4 s[8:11], s[4:5], 0x0
	s_load_dwordx2 s[6:7], s[4:5], 0x30
	s_waitcnt lgkmcnt(0)
	s_cmp_eq_u32 s10, 1
	s_cselect_b64 s[16:17], -1, 0
	s_cmpk_eq_i32 s8, 0x6f
	s_cselect_b64 s[18:19], -1, 0
	s_cmpk_lg_i32 s8, 0x6f
	s_cselect_b64 s[22:23], -1, 0
	s_cmp_lg_u32 s10, 1
	s_waitcnt vmcnt(1)
	v_subrev_u32_e32 v6, s20, v6
	v_ashrrev_i32_e32 v7, 31, v6
	s_cbranch_scc0 .LBB8_10
; %bb.7:
	s_andn2_b64 vcc, exec, s[18:19]
	v_pk_mov_b32 v[4:5], v[6:7], v[6:7] op_sel:[0,1]
	s_cbranch_vccnz .LBB8_9
; %bb.8:
	v_mul_lo_u32 v8, v7, s6
	v_mul_lo_u32 v9, v6, s7
	v_mad_u64_u32 v[4:5], s[24:25], v6, s6, 0
	v_add3_u32 v5, v5, v9, v8
.LBB8_9:
	s_cbranch_execz .LBB8_11
	s_branch .LBB8_14
.LBB8_10:
                                        ; implicit-def: $vgpr4_vgpr5
.LBB8_11:
	s_andn2_b64 vcc, exec, s[22:23]
	s_cbranch_vccnz .LBB8_13
; %bb.12:
	v_mul_lo_u32 v4, v7, s6
	v_mul_lo_u32 v5, v6, s7
	v_mad_u64_u32 v[6:7], s[22:23], v6, s6, 0
	v_add3_u32 v7, v7, v5, v4
.LBB8_13:
	v_pk_mov_b32 v[4:5], v[6:7], v[6:7] op_sel:[0,1]
.LBB8_14:
	s_cmp_eq_u32 s11, 1
	s_waitcnt vmcnt(0)
	v_subrev_u32_e32 v6, s20, v1
	s_cselect_b64 s[20:21], -1, 0
	s_cmpk_eq_i32 s9, 0x6f
	s_cselect_b64 s[22:23], -1, 0
	s_cmpk_lg_i32 s9, 0x6f
	s_cselect_b64 s[8:9], -1, 0
	s_cmp_lg_u32 s11, 1
	v_ashrrev_i32_e32 v7, 31, v6
	s_cbranch_scc0 .LBB8_18
; %bb.15:
	s_andn2_b64 vcc, exec, s[8:9]
	v_pk_mov_b32 v[8:9], v[6:7], v[6:7] op_sel:[0,1]
	s_cbranch_vccnz .LBB8_17
; %bb.16:
	v_mul_lo_u32 v1, v7, s0
	v_mul_lo_u32 v11, v6, s1
	v_mad_u64_u32 v[8:9], s[8:9], v6, s0, 0
	v_add3_u32 v9, v9, v11, v1
.LBB8_17:
	s_cbranch_execz .LBB8_19
	s_branch .LBB8_22
.LBB8_18:
                                        ; implicit-def: $vgpr8_vgpr9
.LBB8_19:
	s_andn2_b64 vcc, exec, s[22:23]
	s_cbranch_vccnz .LBB8_21
; %bb.20:
	v_mul_lo_u32 v1, v7, s0
	v_mul_lo_u32 v8, v6, s1
	v_mad_u64_u32 v[6:7], s[8:9], v6, s0, 0
	v_add3_u32 v7, v7, v8, v1
.LBB8_21:
	v_pk_mov_b32 v[8:9], v[6:7], v[6:7] op_sel:[0,1]
.LBB8_22:
	s_load_dwordx2 s[8:9], s[4:5], 0x50
	v_and_b32_e32 v6, 1, v0
	v_cmp_gt_i32_e32 vcc, s14, v6
	v_mov_b32_e32 v7, 0
	s_and_saveexec_b64 s[10:11], vcc
	s_cbranch_execz .LBB8_26
; %bb.23:
	s_load_dwordx2 s[24:25], s[4:5], 0x38
	s_load_dwordx2 s[26:27], s[4:5], 0x28
	s_xor_b64 s[4:5], s[18:19], s[16:17]
	v_lshlrev_b64 v[0:1], 2, v[8:9]
	s_and_b64 s[4:5], s[4:5], exec
	s_waitcnt lgkmcnt(0)
	v_mov_b32_e32 v7, s25
	v_add_co_u32_e32 v8, vcc, s24, v0
	s_cselect_b32 s1, 1, s6
	s_xor_b64 s[4:5], s[22:23], s[20:21]
	v_addc_co_u32_e32 v9, vcc, v7, v1, vcc
	v_lshlrev_b64 v[0:1], 2, v[4:5]
	s_and_b64 s[4:5], s[4:5], exec
	v_mov_b32_e32 v4, s27
	v_add_co_u32_e32 v11, vcc, s26, v0
	s_cselect_b32 s0, s0, 1
	v_addc_co_u32_e32 v12, vcc, v4, v1, vcc
	v_mul_lo_u32 v0, s0, v6
	s_lshl_b32 s3, s0, 1
	v_mul_lo_u32 v4, s1, v6
	s_lshl_b32 s4, s1, 1
	s_mov_b64 s[0:1], 0
	v_mov_b32_e32 v7, 0
	v_mov_b32_e32 v13, v6
.LBB8_24:                               ; =>This Inner Loop Header: Depth=1
	v_ashrrev_i32_e32 v5, 31, v4
	v_lshlrev_b64 v[14:15], 2, v[4:5]
	v_add_co_u32_e32 v14, vcc, v11, v14
	v_addc_co_u32_e32 v15, vcc, v12, v15, vcc
	v_ashrrev_i32_e32 v1, 31, v0
	global_load_dword v5, v[14:15], off
	v_lshlrev_b64 v[14:15], 2, v[0:1]
	v_add_co_u32_e32 v14, vcc, v8, v14
	v_addc_co_u32_e32 v15, vcc, v9, v15, vcc
	global_load_dword v1, v[14:15], off
	v_add_u32_e32 v13, 2, v13
	v_cmp_le_i32_e32 vcc, s14, v13
	v_add_u32_e32 v0, s3, v0
	s_or_b64 s[0:1], vcc, s[0:1]
	v_add_u32_e32 v4, s4, v4
	s_waitcnt vmcnt(0)
	v_fmac_f32_e32 v7, v5, v1
	s_andn2_b64 exec, exec, s[0:1]
	s_cbranch_execnz .LBB8_24
; %bb.25:
	s_or_b64 exec, exec, s[0:1]
.LBB8_26:
	s_or_b64 exec, exec, s[10:11]
	v_lshlrev_b32_e32 v0, 3, v10
	v_lshl_or_b32 v1, v6, 2, v0
	v_cmp_eq_u32_e32 vcc, 0, v6
	ds_write_b32 v1, v7
	s_waitcnt lgkmcnt(0)
	s_barrier
	s_and_saveexec_b64 s[0:1], vcc
	s_cbranch_execz .LBB8_28
; %bb.27:
	ds_read_b32 v4, v0 offset:4
	ds_read_b32 v5, v1
	s_waitcnt lgkmcnt(0)
	v_add_f32_e32 v4, v4, v5
	ds_write_b32 v1, v4
.LBB8_28:
	s_or_b64 exec, exec, s[0:1]
	s_waitcnt lgkmcnt(0)
	s_barrier
	s_and_b64 exec, exec, vcc
	s_cbranch_execz .LBB8_30
; %bb.29:
	v_mov_b32_e32 v1, s9
	v_add_co_u32_e32 v2, vcc, s8, v2
	v_addc_co_u32_e32 v3, vcc, v1, v3, vcc
	global_load_dword v1, v[2:3], off
	ds_read_b32 v0, v0
	s_waitcnt lgkmcnt(0)
	v_mul_f32_e32 v0, s12, v0
	s_waitcnt vmcnt(0)
	v_fmac_f32_e32 v0, s2, v1
	global_store_dword v[2:3], v0, off
.LBB8_30:
	s_endpgm
	.section	.rodata,"a",@progbits
	.p2align	6, 0x0
	.amdhsa_kernel _ZN9rocsparseL17sddmm_coox_kernelILi512ELi2ELb0EfiifffEEv20rocsparse_operation_S1_16rocsparse_order_S2_T4_S3_S3_T3_NS_24const_host_device_scalarIT2_EEPKT5_lPKT6_lS7_PT7_PKS4_SH_21rocsparse_index_base_b
		.amdhsa_group_segment_fixed_size 2048
		.amdhsa_private_segment_fixed_size 0
		.amdhsa_kernarg_size 112
		.amdhsa_user_sgpr_count 6
		.amdhsa_user_sgpr_private_segment_buffer 1
		.amdhsa_user_sgpr_dispatch_ptr 0
		.amdhsa_user_sgpr_queue_ptr 0
		.amdhsa_user_sgpr_kernarg_segment_ptr 1
		.amdhsa_user_sgpr_dispatch_id 0
		.amdhsa_user_sgpr_flat_scratch_init 0
		.amdhsa_user_sgpr_kernarg_preload_length 0
		.amdhsa_user_sgpr_kernarg_preload_offset 0
		.amdhsa_user_sgpr_private_segment_size 0
		.amdhsa_uses_dynamic_stack 0
		.amdhsa_system_sgpr_private_segment_wavefront_offset 0
		.amdhsa_system_sgpr_workgroup_id_x 1
		.amdhsa_system_sgpr_workgroup_id_y 0
		.amdhsa_system_sgpr_workgroup_id_z 0
		.amdhsa_system_sgpr_workgroup_info 0
		.amdhsa_system_vgpr_workitem_id 0
		.amdhsa_next_free_vgpr 16
		.amdhsa_next_free_sgpr 28
		.amdhsa_accum_offset 16
		.amdhsa_reserve_vcc 1
		.amdhsa_reserve_flat_scratch 0
		.amdhsa_float_round_mode_32 0
		.amdhsa_float_round_mode_16_64 0
		.amdhsa_float_denorm_mode_32 3
		.amdhsa_float_denorm_mode_16_64 3
		.amdhsa_dx10_clamp 1
		.amdhsa_ieee_mode 1
		.amdhsa_fp16_overflow 0
		.amdhsa_tg_split 0
		.amdhsa_exception_fp_ieee_invalid_op 0
		.amdhsa_exception_fp_denorm_src 0
		.amdhsa_exception_fp_ieee_div_zero 0
		.amdhsa_exception_fp_ieee_overflow 0
		.amdhsa_exception_fp_ieee_underflow 0
		.amdhsa_exception_fp_ieee_inexact 0
		.amdhsa_exception_int_div_zero 0
	.end_amdhsa_kernel
	.section	.text._ZN9rocsparseL17sddmm_coox_kernelILi512ELi2ELb0EfiifffEEv20rocsparse_operation_S1_16rocsparse_order_S2_T4_S3_S3_T3_NS_24const_host_device_scalarIT2_EEPKT5_lPKT6_lS7_PT7_PKS4_SH_21rocsparse_index_base_b,"axG",@progbits,_ZN9rocsparseL17sddmm_coox_kernelILi512ELi2ELb0EfiifffEEv20rocsparse_operation_S1_16rocsparse_order_S2_T4_S3_S3_T3_NS_24const_host_device_scalarIT2_EEPKT5_lPKT6_lS7_PT7_PKS4_SH_21rocsparse_index_base_b,comdat
.Lfunc_end8:
	.size	_ZN9rocsparseL17sddmm_coox_kernelILi512ELi2ELb0EfiifffEEv20rocsparse_operation_S1_16rocsparse_order_S2_T4_S3_S3_T3_NS_24const_host_device_scalarIT2_EEPKT5_lPKT6_lS7_PT7_PKS4_SH_21rocsparse_index_base_b, .Lfunc_end8-_ZN9rocsparseL17sddmm_coox_kernelILi512ELi2ELb0EfiifffEEv20rocsparse_operation_S1_16rocsparse_order_S2_T4_S3_S3_T3_NS_24const_host_device_scalarIT2_EEPKT5_lPKT6_lS7_PT7_PKS4_SH_21rocsparse_index_base_b
                                        ; -- End function
	.section	.AMDGPU.csdata,"",@progbits
; Kernel info:
; codeLenInByte = 916
; NumSgprs: 32
; NumVgprs: 16
; NumAgprs: 0
; TotalNumVgprs: 16
; ScratchSize: 0
; MemoryBound: 0
; FloatMode: 240
; IeeeMode: 1
; LDSByteSize: 2048 bytes/workgroup (compile time only)
; SGPRBlocks: 3
; VGPRBlocks: 1
; NumSGPRsForWavesPerEU: 32
; NumVGPRsForWavesPerEU: 16
; AccumOffset: 16
; Occupancy: 8
; WaveLimiterHint : 0
; COMPUTE_PGM_RSRC2:SCRATCH_EN: 0
; COMPUTE_PGM_RSRC2:USER_SGPR: 6
; COMPUTE_PGM_RSRC2:TRAP_HANDLER: 0
; COMPUTE_PGM_RSRC2:TGID_X_EN: 1
; COMPUTE_PGM_RSRC2:TGID_Y_EN: 0
; COMPUTE_PGM_RSRC2:TGID_Z_EN: 0
; COMPUTE_PGM_RSRC2:TIDIG_COMP_CNT: 0
; COMPUTE_PGM_RSRC3_GFX90A:ACCUM_OFFSET: 3
; COMPUTE_PGM_RSRC3_GFX90A:TG_SPLIT: 0
	.section	.text._ZN9rocsparseL17sddmm_coox_kernelILi512ELi1ELb0EfiifffEEv20rocsparse_operation_S1_16rocsparse_order_S2_T4_S3_S3_T3_NS_24const_host_device_scalarIT2_EEPKT5_lPKT6_lS7_PT7_PKS4_SH_21rocsparse_index_base_b,"axG",@progbits,_ZN9rocsparseL17sddmm_coox_kernelILi512ELi1ELb0EfiifffEEv20rocsparse_operation_S1_16rocsparse_order_S2_T4_S3_S3_T3_NS_24const_host_device_scalarIT2_EEPKT5_lPKT6_lS7_PT7_PKS4_SH_21rocsparse_index_base_b,comdat
	.globl	_ZN9rocsparseL17sddmm_coox_kernelILi512ELi1ELb0EfiifffEEv20rocsparse_operation_S1_16rocsparse_order_S2_T4_S3_S3_T3_NS_24const_host_device_scalarIT2_EEPKT5_lPKT6_lS7_PT7_PKS4_SH_21rocsparse_index_base_b ; -- Begin function _ZN9rocsparseL17sddmm_coox_kernelILi512ELi1ELb0EfiifffEEv20rocsparse_operation_S1_16rocsparse_order_S2_T4_S3_S3_T3_NS_24const_host_device_scalarIT2_EEPKT5_lPKT6_lS7_PT7_PKS4_SH_21rocsparse_index_base_b
	.p2align	8
	.type	_ZN9rocsparseL17sddmm_coox_kernelILi512ELi1ELb0EfiifffEEv20rocsparse_operation_S1_16rocsparse_order_S2_T4_S3_S3_T3_NS_24const_host_device_scalarIT2_EEPKT5_lPKT6_lS7_PT7_PKS4_SH_21rocsparse_index_base_b,@function
_ZN9rocsparseL17sddmm_coox_kernelILi512ELi1ELb0EfiifffEEv20rocsparse_operation_S1_16rocsparse_order_S2_T4_S3_S3_T3_NS_24const_host_device_scalarIT2_EEPKT5_lPKT6_lS7_PT7_PKS4_SH_21rocsparse_index_base_b: ; @_ZN9rocsparseL17sddmm_coox_kernelILi512ELi1ELb0EfiifffEEv20rocsparse_operation_S1_16rocsparse_order_S2_T4_S3_S3_T3_NS_24const_host_device_scalarIT2_EEPKT5_lPKT6_lS7_PT7_PKS4_SH_21rocsparse_index_base_b
; %bb.0:
	s_load_dwordx2 s[20:21], s[4:5], 0x68
	s_load_dwordx2 s[12:13], s[4:5], 0x20
	s_load_dwordx4 s[0:3], s[4:5], 0x40
	s_waitcnt lgkmcnt(0)
	s_bitcmp1_b32 s21, 0
	s_cselect_b64 s[10:11], -1, 0
	s_xor_b64 s[8:9], s[10:11], -1
	s_and_b64 vcc, exec, s[10:11]
	s_cbranch_vccnz .LBB9_2
; %bb.1:
	s_load_dword s12, s[12:13], 0x0
.LBB9_2:
	s_andn2_b64 vcc, exec, s[8:9]
	s_cbranch_vccnz .LBB9_4
; %bb.3:
	s_load_dword s2, s[2:3], 0x0
.LBB9_4:
	s_waitcnt lgkmcnt(0)
	v_cmp_eq_f32_e64 s[8:9], s12, 0
	v_cmp_eq_f32_e64 s[10:11], s2, 1.0
	s_and_b64 s[8:9], s[8:9], s[10:11]
	s_and_b64 vcc, exec, s[8:9]
	s_cbranch_vccnz .LBB9_27
; %bb.5:
	s_load_dwordx2 s[14:15], s[4:5], 0x18
	v_lshl_or_b32 v2, s6, 9, v0
	s_waitcnt lgkmcnt(0)
	v_cmp_gt_i32_e32 vcc, s15, v2
	s_and_saveexec_b64 s[6:7], vcc
	s_cbranch_execz .LBB9_27
; %bb.6:
	s_load_dwordx4 s[8:11], s[4:5], 0x58
	v_ashrrev_i32_e32 v3, 31, v2
	v_lshlrev_b64 v[2:3], 2, v[2:3]
	s_waitcnt lgkmcnt(0)
	v_mov_b32_e32 v1, s9
	v_add_co_u32_e32 v4, vcc, s8, v2
	v_addc_co_u32_e32 v5, vcc, v1, v3, vcc
	global_load_dword v6, v[4:5], off
	v_mov_b32_e32 v1, s11
	v_add_co_u32_e32 v4, vcc, s10, v2
	v_addc_co_u32_e32 v5, vcc, v1, v3, vcc
	global_load_dword v1, v[4:5], off
	s_load_dwordx4 s[8:11], s[4:5], 0x0
	s_load_dwordx2 s[6:7], s[4:5], 0x30
	s_waitcnt lgkmcnt(0)
	s_cmp_eq_u32 s10, 1
	s_cselect_b64 s[16:17], -1, 0
	s_cmpk_eq_i32 s8, 0x6f
	s_cselect_b64 s[18:19], -1, 0
	s_cmpk_lg_i32 s8, 0x6f
	s_cselect_b64 s[22:23], -1, 0
	s_cmp_lg_u32 s10, 1
	s_waitcnt vmcnt(1)
	v_subrev_u32_e32 v6, s20, v6
	v_ashrrev_i32_e32 v7, 31, v6
	s_cbranch_scc0 .LBB9_10
; %bb.7:
	s_andn2_b64 vcc, exec, s[18:19]
	v_pk_mov_b32 v[4:5], v[6:7], v[6:7] op_sel:[0,1]
	s_cbranch_vccnz .LBB9_9
; %bb.8:
	v_mul_lo_u32 v8, v7, s6
	v_mul_lo_u32 v9, v6, s7
	v_mad_u64_u32 v[4:5], s[24:25], v6, s6, 0
	v_add3_u32 v5, v5, v9, v8
.LBB9_9:
	s_cbranch_execz .LBB9_11
	s_branch .LBB9_14
.LBB9_10:
                                        ; implicit-def: $vgpr4_vgpr5
.LBB9_11:
	s_andn2_b64 vcc, exec, s[22:23]
	s_cbranch_vccnz .LBB9_13
; %bb.12:
	v_mul_lo_u32 v4, v7, s6
	v_mul_lo_u32 v5, v6, s7
	v_mad_u64_u32 v[6:7], s[22:23], v6, s6, 0
	v_add3_u32 v7, v7, v5, v4
.LBB9_13:
	v_pk_mov_b32 v[4:5], v[6:7], v[6:7] op_sel:[0,1]
.LBB9_14:
	s_cmp_eq_u32 s11, 1
	s_waitcnt vmcnt(0)
	v_subrev_u32_e32 v6, s20, v1
	s_cselect_b64 s[20:21], -1, 0
	s_cmpk_eq_i32 s9, 0x6f
	s_cselect_b64 s[22:23], -1, 0
	s_cmpk_lg_i32 s9, 0x6f
	s_cselect_b64 s[8:9], -1, 0
	s_cmp_lg_u32 s11, 1
	v_ashrrev_i32_e32 v7, 31, v6
	s_cbranch_scc0 .LBB9_21
; %bb.15:
	s_andn2_b64 vcc, exec, s[8:9]
	v_pk_mov_b32 v[8:9], v[6:7], v[6:7] op_sel:[0,1]
	s_cbranch_vccnz .LBB9_17
; %bb.16:
	v_mul_lo_u32 v1, v7, s0
	v_mul_lo_u32 v10, v6, s1
	v_mad_u64_u32 v[8:9], s[8:9], v6, s0, 0
	v_add3_u32 v9, v9, v10, v1
.LBB9_17:
	s_cbranch_execz .LBB9_22
; %bb.18:
	s_load_dwordx2 s[8:9], s[4:5], 0x50
	s_cmp_lt_i32 s14, 1
	s_cbranch_scc1 .LBB9_25
.LBB9_19:
	s_load_dwordx2 s[10:11], s[4:5], 0x38
	s_load_dwordx2 s[24:25], s[4:5], 0x28
	s_xor_b64 s[4:5], s[18:19], s[16:17]
	s_and_b64 s[4:5], s[4:5], exec
	s_cselect_b32 s4, 1, s6
	s_xor_b64 s[6:7], s[22:23], s[20:21]
	v_lshlrev_b64 v[6:7], 2, v[8:9]
	s_and_b64 s[6:7], s[6:7], exec
	s_waitcnt lgkmcnt(0)
	v_mov_b32_e32 v1, s11
	v_add_co_u32_e32 v6, vcc, s10, v6
	s_cselect_b32 s0, s0, 1
	v_addc_co_u32_e32 v7, vcc, v1, v7, vcc
	v_lshlrev_b64 v[4:5], 2, v[4:5]
	s_ashr_i32 s1, s0, 31
	s_ashr_i32 s5, s4, 31
	v_mov_b32_e32 v1, s25
	v_add_co_u32_e32 v4, vcc, s24, v4
	s_lshl_b64 s[0:1], s[0:1], 2
	s_lshl_b64 s[4:5], s[4:5], 2
	v_addc_co_u32_e32 v5, vcc, v1, v5, vcc
	v_mov_b32_e32 v1, 0
	v_mov_b32_e32 v8, s1
	;; [unrolled: 1-line block ×3, first 2 shown]
.LBB9_20:                               ; =>This Inner Loop Header: Depth=1
	global_load_dword v10, v[4:5], off
	global_load_dword v11, v[6:7], off
	v_add_co_u32_e32 v6, vcc, s0, v6
	v_addc_co_u32_e32 v7, vcc, v7, v8, vcc
	s_add_i32 s14, s14, -1
	v_add_co_u32_e32 v4, vcc, s4, v4
	v_addc_co_u32_e32 v5, vcc, v5, v9, vcc
	s_cmp_eq_u32 s14, 0
	s_waitcnt vmcnt(0)
	v_fmac_f32_e32 v1, v10, v11
	s_cbranch_scc0 .LBB9_20
	s_branch .LBB9_26
.LBB9_21:
                                        ; implicit-def: $vgpr8_vgpr9
.LBB9_22:
	s_andn2_b64 vcc, exec, s[22:23]
	s_cbranch_vccnz .LBB9_24
; %bb.23:
	v_mul_lo_u32 v1, v7, s0
	v_mul_lo_u32 v8, v6, s1
	v_mad_u64_u32 v[6:7], s[8:9], v6, s0, 0
	v_add3_u32 v7, v7, v8, v1
.LBB9_24:
	v_pk_mov_b32 v[8:9], v[6:7], v[6:7] op_sel:[0,1]
	s_load_dwordx2 s[8:9], s[4:5], 0x50
	s_cmp_lt_i32 s14, 1
	s_cbranch_scc0 .LBB9_19
.LBB9_25:
	v_mov_b32_e32 v1, 0
.LBB9_26:
	v_lshlrev_b32_e32 v4, 2, v0
	ds_write_b32 v4, v1
	s_waitcnt lgkmcnt(0)
	v_mov_b32_e32 v1, s9
	v_add_co_u32_e32 v0, vcc, s8, v2
	v_addc_co_u32_e32 v1, vcc, v1, v3, vcc
	s_barrier
	global_load_dword v2, v[0:1], off
	ds_read_b32 v3, v4
	s_waitcnt lgkmcnt(0)
	v_mul_f32_e32 v3, s12, v3
	s_waitcnt vmcnt(0)
	v_fmac_f32_e32 v3, s2, v2
	global_store_dword v[0:1], v3, off
.LBB9_27:
	s_endpgm
	.section	.rodata,"a",@progbits
	.p2align	6, 0x0
	.amdhsa_kernel _ZN9rocsparseL17sddmm_coox_kernelILi512ELi1ELb0EfiifffEEv20rocsparse_operation_S1_16rocsparse_order_S2_T4_S3_S3_T3_NS_24const_host_device_scalarIT2_EEPKT5_lPKT6_lS7_PT7_PKS4_SH_21rocsparse_index_base_b
		.amdhsa_group_segment_fixed_size 2048
		.amdhsa_private_segment_fixed_size 0
		.amdhsa_kernarg_size 112
		.amdhsa_user_sgpr_count 6
		.amdhsa_user_sgpr_private_segment_buffer 1
		.amdhsa_user_sgpr_dispatch_ptr 0
		.amdhsa_user_sgpr_queue_ptr 0
		.amdhsa_user_sgpr_kernarg_segment_ptr 1
		.amdhsa_user_sgpr_dispatch_id 0
		.amdhsa_user_sgpr_flat_scratch_init 0
		.amdhsa_user_sgpr_kernarg_preload_length 0
		.amdhsa_user_sgpr_kernarg_preload_offset 0
		.amdhsa_user_sgpr_private_segment_size 0
		.amdhsa_uses_dynamic_stack 0
		.amdhsa_system_sgpr_private_segment_wavefront_offset 0
		.amdhsa_system_sgpr_workgroup_id_x 1
		.amdhsa_system_sgpr_workgroup_id_y 0
		.amdhsa_system_sgpr_workgroup_id_z 0
		.amdhsa_system_sgpr_workgroup_info 0
		.amdhsa_system_vgpr_workitem_id 0
		.amdhsa_next_free_vgpr 12
		.amdhsa_next_free_sgpr 26
		.amdhsa_accum_offset 12
		.amdhsa_reserve_vcc 1
		.amdhsa_reserve_flat_scratch 0
		.amdhsa_float_round_mode_32 0
		.amdhsa_float_round_mode_16_64 0
		.amdhsa_float_denorm_mode_32 3
		.amdhsa_float_denorm_mode_16_64 3
		.amdhsa_dx10_clamp 1
		.amdhsa_ieee_mode 1
		.amdhsa_fp16_overflow 0
		.amdhsa_tg_split 0
		.amdhsa_exception_fp_ieee_invalid_op 0
		.amdhsa_exception_fp_denorm_src 0
		.amdhsa_exception_fp_ieee_div_zero 0
		.amdhsa_exception_fp_ieee_overflow 0
		.amdhsa_exception_fp_ieee_underflow 0
		.amdhsa_exception_fp_ieee_inexact 0
		.amdhsa_exception_int_div_zero 0
	.end_amdhsa_kernel
	.section	.text._ZN9rocsparseL17sddmm_coox_kernelILi512ELi1ELb0EfiifffEEv20rocsparse_operation_S1_16rocsparse_order_S2_T4_S3_S3_T3_NS_24const_host_device_scalarIT2_EEPKT5_lPKT6_lS7_PT7_PKS4_SH_21rocsparse_index_base_b,"axG",@progbits,_ZN9rocsparseL17sddmm_coox_kernelILi512ELi1ELb0EfiifffEEv20rocsparse_operation_S1_16rocsparse_order_S2_T4_S3_S3_T3_NS_24const_host_device_scalarIT2_EEPKT5_lPKT6_lS7_PT7_PKS4_SH_21rocsparse_index_base_b,comdat
.Lfunc_end9:
	.size	_ZN9rocsparseL17sddmm_coox_kernelILi512ELi1ELb0EfiifffEEv20rocsparse_operation_S1_16rocsparse_order_S2_T4_S3_S3_T3_NS_24const_host_device_scalarIT2_EEPKT5_lPKT6_lS7_PT7_PKS4_SH_21rocsparse_index_base_b, .Lfunc_end9-_ZN9rocsparseL17sddmm_coox_kernelILi512ELi1ELb0EfiifffEEv20rocsparse_operation_S1_16rocsparse_order_S2_T4_S3_S3_T3_NS_24const_host_device_scalarIT2_EEPKT5_lPKT6_lS7_PT7_PKS4_SH_21rocsparse_index_base_b
                                        ; -- End function
	.section	.AMDGPU.csdata,"",@progbits
; Kernel info:
; codeLenInByte = 792
; NumSgprs: 30
; NumVgprs: 12
; NumAgprs: 0
; TotalNumVgprs: 12
; ScratchSize: 0
; MemoryBound: 0
; FloatMode: 240
; IeeeMode: 1
; LDSByteSize: 2048 bytes/workgroup (compile time only)
; SGPRBlocks: 3
; VGPRBlocks: 1
; NumSGPRsForWavesPerEU: 30
; NumVGPRsForWavesPerEU: 12
; AccumOffset: 12
; Occupancy: 8
; WaveLimiterHint : 0
; COMPUTE_PGM_RSRC2:SCRATCH_EN: 0
; COMPUTE_PGM_RSRC2:USER_SGPR: 6
; COMPUTE_PGM_RSRC2:TRAP_HANDLER: 0
; COMPUTE_PGM_RSRC2:TGID_X_EN: 1
; COMPUTE_PGM_RSRC2:TGID_Y_EN: 0
; COMPUTE_PGM_RSRC2:TGID_Z_EN: 0
; COMPUTE_PGM_RSRC2:TIDIG_COMP_CNT: 0
; COMPUTE_PGM_RSRC3_GFX90A:ACCUM_OFFSET: 2
; COMPUTE_PGM_RSRC3_GFX90A:TG_SPLIT: 0
	.section	.text._ZN9rocsparseL24sddmm_coox_sample_kernelILi512ELb0EdiidEEvT3_S1_T2_PKT4_S1_PS3_PKS2_S8_21rocsparse_index_base_,"axG",@progbits,_ZN9rocsparseL24sddmm_coox_sample_kernelILi512ELb0EdiidEEvT3_S1_T2_PKT4_S1_PS3_PKS2_S8_21rocsparse_index_base_,comdat
	.globl	_ZN9rocsparseL24sddmm_coox_sample_kernelILi512ELb0EdiidEEvT3_S1_T2_PKT4_S1_PS3_PKS2_S8_21rocsparse_index_base_ ; -- Begin function _ZN9rocsparseL24sddmm_coox_sample_kernelILi512ELb0EdiidEEvT3_S1_T2_PKT4_S1_PS3_PKS2_S8_21rocsparse_index_base_
	.p2align	8
	.type	_ZN9rocsparseL24sddmm_coox_sample_kernelILi512ELb0EdiidEEvT3_S1_T2_PKT4_S1_PS3_PKS2_S8_21rocsparse_index_base_,@function
_ZN9rocsparseL24sddmm_coox_sample_kernelILi512ELb0EdiidEEvT3_S1_T2_PKT4_S1_PS3_PKS2_S8_21rocsparse_index_base_: ; @_ZN9rocsparseL24sddmm_coox_sample_kernelILi512ELb0EdiidEEvT3_S1_T2_PKT4_S1_PS3_PKS2_S8_21rocsparse_index_base_
; %bb.0:
	s_load_dword s10, s[4:5], 0x8
	v_lshl_or_b32 v0, s6, 9, v0
	s_waitcnt lgkmcnt(0)
	v_cmp_gt_u32_e32 vcc, s10, v0
	s_and_saveexec_b64 s[0:1], vcc
	s_cbranch_execz .LBB10_3
; %bb.1:
	s_load_dword s11, s[4:5], 0x38
	s_load_dword s13, s[4:5], 0x40
	s_load_dwordx4 s[0:3], s[4:5], 0x20
	s_load_dwordx2 s[6:7], s[4:5], 0x30
	s_load_dwordx2 s[8:9], s[4:5], 0x10
	s_load_dword s12, s[4:5], 0x18
	s_waitcnt lgkmcnt(0)
	s_lshl_b32 s13, s13, 9
	s_mov_b64 s[4:5], 0
	v_mov_b32_e32 v1, 0
	v_mov_b32_e32 v2, s3
	;; [unrolled: 1-line block ×5, first 2 shown]
.LBB10_2:                               ; =>This Inner Loop Header: Depth=1
	v_lshlrev_b64 v[6:7], 2, v[0:1]
	v_add_co_u32_e32 v8, vcc, s2, v6
	v_addc_co_u32_e32 v9, vcc, v2, v7, vcc
	v_add_co_u32_e32 v6, vcc, s6, v6
	v_addc_co_u32_e32 v7, vcc, v3, v7, vcc
	global_load_dword v10, v[8:9], off
	global_load_dword v11, v[6:7], off
	v_lshlrev_b64 v[8:9], 3, v[0:1]
	v_add_u32_e32 v0, s13, v0
	s_waitcnt vmcnt(1)
	v_subrev_u32_e32 v6, s11, v10
	s_waitcnt vmcnt(0)
	v_subrev_u32_e32 v7, s11, v11
	v_mad_u64_u32 v[6:7], s[14:15], v7, s12, v[6:7]
	v_ashrrev_i32_e32 v7, 31, v6
	v_lshlrev_b64 v[6:7], 3, v[6:7]
	v_add_co_u32_e32 v6, vcc, s8, v6
	v_addc_co_u32_e32 v7, vcc, v4, v7, vcc
	global_load_dwordx2 v[6:7], v[6:7], off
	v_add_co_u32_e32 v8, vcc, s0, v8
	v_addc_co_u32_e32 v9, vcc, v5, v9, vcc
	v_cmp_le_u32_e32 vcc, s10, v0
	s_or_b64 s[4:5], vcc, s[4:5]
	s_waitcnt vmcnt(0)
	global_store_dwordx2 v[8:9], v[6:7], off
	s_andn2_b64 exec, exec, s[4:5]
	s_cbranch_execnz .LBB10_2
.LBB10_3:
	s_endpgm
	.section	.rodata,"a",@progbits
	.p2align	6, 0x0
	.amdhsa_kernel _ZN9rocsparseL24sddmm_coox_sample_kernelILi512ELb0EdiidEEvT3_S1_T2_PKT4_S1_PS3_PKS2_S8_21rocsparse_index_base_
		.amdhsa_group_segment_fixed_size 0
		.amdhsa_private_segment_fixed_size 0
		.amdhsa_kernarg_size 320
		.amdhsa_user_sgpr_count 6
		.amdhsa_user_sgpr_private_segment_buffer 1
		.amdhsa_user_sgpr_dispatch_ptr 0
		.amdhsa_user_sgpr_queue_ptr 0
		.amdhsa_user_sgpr_kernarg_segment_ptr 1
		.amdhsa_user_sgpr_dispatch_id 0
		.amdhsa_user_sgpr_flat_scratch_init 0
		.amdhsa_user_sgpr_kernarg_preload_length 0
		.amdhsa_user_sgpr_kernarg_preload_offset 0
		.amdhsa_user_sgpr_private_segment_size 0
		.amdhsa_uses_dynamic_stack 0
		.amdhsa_system_sgpr_private_segment_wavefront_offset 0
		.amdhsa_system_sgpr_workgroup_id_x 1
		.amdhsa_system_sgpr_workgroup_id_y 0
		.amdhsa_system_sgpr_workgroup_id_z 0
		.amdhsa_system_sgpr_workgroup_info 0
		.amdhsa_system_vgpr_workitem_id 0
		.amdhsa_next_free_vgpr 12
		.amdhsa_next_free_sgpr 16
		.amdhsa_accum_offset 12
		.amdhsa_reserve_vcc 1
		.amdhsa_reserve_flat_scratch 0
		.amdhsa_float_round_mode_32 0
		.amdhsa_float_round_mode_16_64 0
		.amdhsa_float_denorm_mode_32 3
		.amdhsa_float_denorm_mode_16_64 3
		.amdhsa_dx10_clamp 1
		.amdhsa_ieee_mode 1
		.amdhsa_fp16_overflow 0
		.amdhsa_tg_split 0
		.amdhsa_exception_fp_ieee_invalid_op 0
		.amdhsa_exception_fp_denorm_src 0
		.amdhsa_exception_fp_ieee_div_zero 0
		.amdhsa_exception_fp_ieee_overflow 0
		.amdhsa_exception_fp_ieee_underflow 0
		.amdhsa_exception_fp_ieee_inexact 0
		.amdhsa_exception_int_div_zero 0
	.end_amdhsa_kernel
	.section	.text._ZN9rocsparseL24sddmm_coox_sample_kernelILi512ELb0EdiidEEvT3_S1_T2_PKT4_S1_PS3_PKS2_S8_21rocsparse_index_base_,"axG",@progbits,_ZN9rocsparseL24sddmm_coox_sample_kernelILi512ELb0EdiidEEvT3_S1_T2_PKT4_S1_PS3_PKS2_S8_21rocsparse_index_base_,comdat
.Lfunc_end10:
	.size	_ZN9rocsparseL24sddmm_coox_sample_kernelILi512ELb0EdiidEEvT3_S1_T2_PKT4_S1_PS3_PKS2_S8_21rocsparse_index_base_, .Lfunc_end10-_ZN9rocsparseL24sddmm_coox_sample_kernelILi512ELb0EdiidEEvT3_S1_T2_PKT4_S1_PS3_PKS2_S8_21rocsparse_index_base_
                                        ; -- End function
	.section	.AMDGPU.csdata,"",@progbits
; Kernel info:
; codeLenInByte = 256
; NumSgprs: 20
; NumVgprs: 12
; NumAgprs: 0
; TotalNumVgprs: 12
; ScratchSize: 0
; MemoryBound: 0
; FloatMode: 240
; IeeeMode: 1
; LDSByteSize: 0 bytes/workgroup (compile time only)
; SGPRBlocks: 2
; VGPRBlocks: 1
; NumSGPRsForWavesPerEU: 20
; NumVGPRsForWavesPerEU: 12
; AccumOffset: 12
; Occupancy: 8
; WaveLimiterHint : 1
; COMPUTE_PGM_RSRC2:SCRATCH_EN: 0
; COMPUTE_PGM_RSRC2:USER_SGPR: 6
; COMPUTE_PGM_RSRC2:TRAP_HANDLER: 0
; COMPUTE_PGM_RSRC2:TGID_X_EN: 1
; COMPUTE_PGM_RSRC2:TGID_Y_EN: 0
; COMPUTE_PGM_RSRC2:TGID_Z_EN: 0
; COMPUTE_PGM_RSRC2:TIDIG_COMP_CNT: 0
; COMPUTE_PGM_RSRC3_GFX90A:ACCUM_OFFSET: 2
; COMPUTE_PGM_RSRC3_GFX90A:TG_SPLIT: 0
	.section	.text._ZN9rocsparseL17sddmm_coox_kernelILi512ELi8ELb0EdiidddEEv20rocsparse_operation_S1_16rocsparse_order_S2_T4_S3_S3_T3_NS_24const_host_device_scalarIT2_EEPKT5_lPKT6_lS7_PT7_PKS4_SH_21rocsparse_index_base_b,"axG",@progbits,_ZN9rocsparseL17sddmm_coox_kernelILi512ELi8ELb0EdiidddEEv20rocsparse_operation_S1_16rocsparse_order_S2_T4_S3_S3_T3_NS_24const_host_device_scalarIT2_EEPKT5_lPKT6_lS7_PT7_PKS4_SH_21rocsparse_index_base_b,comdat
	.globl	_ZN9rocsparseL17sddmm_coox_kernelILi512ELi8ELb0EdiidddEEv20rocsparse_operation_S1_16rocsparse_order_S2_T4_S3_S3_T3_NS_24const_host_device_scalarIT2_EEPKT5_lPKT6_lS7_PT7_PKS4_SH_21rocsparse_index_base_b ; -- Begin function _ZN9rocsparseL17sddmm_coox_kernelILi512ELi8ELb0EdiidddEEv20rocsparse_operation_S1_16rocsparse_order_S2_T4_S3_S3_T3_NS_24const_host_device_scalarIT2_EEPKT5_lPKT6_lS7_PT7_PKS4_SH_21rocsparse_index_base_b
	.p2align	8
	.type	_ZN9rocsparseL17sddmm_coox_kernelILi512ELi8ELb0EdiidddEEv20rocsparse_operation_S1_16rocsparse_order_S2_T4_S3_S3_T3_NS_24const_host_device_scalarIT2_EEPKT5_lPKT6_lS7_PT7_PKS4_SH_21rocsparse_index_base_b,@function
_ZN9rocsparseL17sddmm_coox_kernelILi512ELi8ELb0EdiidddEEv20rocsparse_operation_S1_16rocsparse_order_S2_T4_S3_S3_T3_NS_24const_host_device_scalarIT2_EEPKT5_lPKT6_lS7_PT7_PKS4_SH_21rocsparse_index_base_b: ; @_ZN9rocsparseL17sddmm_coox_kernelILi512ELi8ELb0EdiidddEEv20rocsparse_operation_S1_16rocsparse_order_S2_T4_S3_S3_T3_NS_24const_host_device_scalarIT2_EEPKT5_lPKT6_lS7_PT7_PKS4_SH_21rocsparse_index_base_b
; %bb.0:
	s_load_dwordx2 s[16:17], s[4:5], 0x68
	s_load_dwordx2 s[2:3], s[4:5], 0x20
	s_load_dwordx4 s[8:11], s[4:5], 0x40
	s_waitcnt lgkmcnt(0)
	s_bitcmp1_b32 s17, 0
	s_cselect_b64 s[12:13], -1, 0
	s_xor_b64 s[0:1], s[12:13], -1
	s_and_b64 vcc, exec, s[12:13]
	v_pk_mov_b32 v[2:3], s[2:3], s[2:3] op_sel:[0,1]
	s_cbranch_vccnz .LBB11_2
; %bb.1:
	v_pk_mov_b32 v[2:3], s[2:3], s[2:3] op_sel:[0,1]
	flat_load_dwordx2 v[2:3], v[2:3]
.LBB11_2:
	s_andn2_b64 vcc, exec, s[0:1]
	v_pk_mov_b32 v[4:5], s[10:11], s[10:11] op_sel:[0,1]
	s_cbranch_vccnz .LBB11_4
; %bb.3:
	v_pk_mov_b32 v[4:5], s[10:11], s[10:11] op_sel:[0,1]
	flat_load_dwordx2 v[4:5], v[4:5]
.LBB11_4:
	s_waitcnt vmcnt(0) lgkmcnt(0)
	v_cmp_neq_f64_e32 vcc, 0, v[2:3]
	v_cmp_neq_f64_e64 s[0:1], 1.0, v[4:5]
	s_or_b64 s[0:1], vcc, s[0:1]
	s_and_saveexec_b64 s[2:3], s[0:1]
	s_cbranch_execz .LBB11_34
; %bb.5:
	s_load_dwordx2 s[10:11], s[4:5], 0x18
	v_lshrrev_b32_e32 v14, 3, v0
	v_lshl_or_b32 v6, s6, 6, v14
	s_waitcnt lgkmcnt(0)
	v_cmp_gt_i32_e32 vcc, s11, v6
	s_and_b64 exec, exec, vcc
	s_cbranch_execz .LBB11_34
; %bb.6:
	s_load_dwordx4 s[0:3], s[4:5], 0x58
	v_ashrrev_i32_e32 v7, 31, v6
	v_lshlrev_b64 v[8:9], 2, v[6:7]
	s_waitcnt lgkmcnt(0)
	v_mov_b32_e32 v1, s1
	v_add_co_u32_e32 v10, vcc, s0, v8
	v_addc_co_u32_e32 v11, vcc, v1, v9, vcc
	global_load_dword v10, v[10:11], off
	v_mov_b32_e32 v1, s3
	v_add_co_u32_e32 v8, vcc, s2, v8
	v_addc_co_u32_e32 v9, vcc, v1, v9, vcc
	global_load_dword v1, v[8:9], off
	s_load_dwordx4 s[0:3], s[4:5], 0x0
	s_load_dwordx2 s[6:7], s[4:5], 0x30
	s_waitcnt lgkmcnt(0)
	s_cmp_eq_u32 s2, 1
	s_cselect_b64 s[12:13], -1, 0
	s_cmpk_eq_i32 s0, 0x6f
	s_cselect_b64 s[14:15], -1, 0
	s_cmpk_lg_i32 s0, 0x6f
	s_cselect_b64 s[18:19], -1, 0
	s_cmp_lg_u32 s2, 1
	s_waitcnt vmcnt(1)
	v_subrev_u32_e32 v10, s16, v10
	v_ashrrev_i32_e32 v11, 31, v10
	s_cbranch_scc0 .LBB11_10
; %bb.7:
	s_andn2_b64 vcc, exec, s[14:15]
	v_pk_mov_b32 v[8:9], v[10:11], v[10:11] op_sel:[0,1]
	s_cbranch_vccnz .LBB11_9
; %bb.8:
	v_mul_lo_u32 v12, v11, s6
	v_mul_lo_u32 v13, v10, s7
	v_mad_u64_u32 v[8:9], s[20:21], v10, s6, 0
	v_add3_u32 v9, v9, v13, v12
.LBB11_9:
	s_cbranch_execz .LBB11_11
	s_branch .LBB11_14
.LBB11_10:
                                        ; implicit-def: $vgpr8_vgpr9
.LBB11_11:
	s_andn2_b64 vcc, exec, s[18:19]
	s_cbranch_vccnz .LBB11_13
; %bb.12:
	v_mul_lo_u32 v8, v11, s6
	v_mul_lo_u32 v9, v10, s7
	v_mad_u64_u32 v[10:11], s[18:19], v10, s6, 0
	v_add3_u32 v11, v11, v9, v8
.LBB11_13:
	v_pk_mov_b32 v[8:9], v[10:11], v[10:11] op_sel:[0,1]
.LBB11_14:
	s_cmp_eq_u32 s3, 1
	s_waitcnt vmcnt(0)
	v_subrev_u32_e32 v10, s16, v1
	s_cselect_b64 s[16:17], -1, 0
	s_cmpk_eq_i32 s1, 0x6f
	s_cselect_b64 s[18:19], -1, 0
	s_cmpk_lg_i32 s1, 0x6f
	s_cselect_b64 s[0:1], -1, 0
	s_cmp_lg_u32 s3, 1
	v_ashrrev_i32_e32 v11, 31, v10
	s_cbranch_scc0 .LBB11_18
; %bb.15:
	s_andn2_b64 vcc, exec, s[0:1]
	v_pk_mov_b32 v[12:13], v[10:11], v[10:11] op_sel:[0,1]
	s_cbranch_vccnz .LBB11_17
; %bb.16:
	v_mul_lo_u32 v1, v11, s8
	v_mul_lo_u32 v15, v10, s9
	v_mad_u64_u32 v[12:13], s[0:1], v10, s8, 0
	v_add3_u32 v13, v13, v15, v1
.LBB11_17:
	s_cbranch_execz .LBB11_19
	s_branch .LBB11_22
.LBB11_18:
                                        ; implicit-def: $vgpr12_vgpr13
.LBB11_19:
	s_andn2_b64 vcc, exec, s[18:19]
	s_cbranch_vccnz .LBB11_21
; %bb.20:
	v_mul_lo_u32 v1, v11, s8
	v_mul_lo_u32 v12, v10, s9
	v_mad_u64_u32 v[10:11], s[0:1], v10, s8, 0
	v_add3_u32 v11, v11, v12, v1
.LBB11_21:
	v_pk_mov_b32 v[12:13], v[10:11], v[10:11] op_sel:[0,1]
.LBB11_22:
	s_load_dwordx2 s[0:1], s[4:5], 0x50
	v_and_b32_e32 v15, 7, v0
	v_cmp_gt_i32_e32 vcc, s10, v15
	v_pk_mov_b32 v[0:1], 0, 0
	s_and_saveexec_b64 s[2:3], vcc
	s_cbranch_execz .LBB11_26
; %bb.23:
	s_load_dwordx2 s[20:21], s[4:5], 0x38
	s_load_dwordx2 s[22:23], s[4:5], 0x28
	s_xor_b64 s[4:5], s[14:15], s[12:13]
	v_lshlrev_b64 v[0:1], 3, v[12:13]
	s_and_b64 s[4:5], s[4:5], exec
	s_waitcnt lgkmcnt(0)
	v_mov_b32_e32 v10, s21
	v_add_co_u32_e32 v12, vcc, s20, v0
	s_cselect_b32 s7, 1, s6
	s_xor_b64 s[4:5], s[18:19], s[16:17]
	v_addc_co_u32_e32 v13, vcc, v10, v1, vcc
	v_lshlrev_b64 v[0:1], 3, v[8:9]
	s_and_b64 s[4:5], s[4:5], exec
	v_mov_b32_e32 v8, s23
	v_add_co_u32_e32 v16, vcc, s22, v0
	s_cselect_b32 s4, s8, 1
	v_addc_co_u32_e32 v17, vcc, v8, v1, vcc
	v_mul_lo_u32 v8, s4, v15
	s_lshl_b32 s6, s4, 3
	v_mul_lo_u32 v10, s7, v15
	s_lshl_b32 s7, s7, 3
	s_mov_b64 s[4:5], 0
	v_pk_mov_b32 v[0:1], 0, 0
	v_mov_b32_e32 v18, v15
.LBB11_24:                              ; =>This Inner Loop Header: Depth=1
	v_ashrrev_i32_e32 v11, 31, v10
	v_lshlrev_b64 v[20:21], 3, v[10:11]
	v_add_co_u32_e32 v20, vcc, v16, v20
	v_ashrrev_i32_e32 v9, 31, v8
	v_addc_co_u32_e32 v21, vcc, v17, v21, vcc
	v_lshlrev_b64 v[22:23], 3, v[8:9]
	v_add_co_u32_e32 v22, vcc, v12, v22
	v_addc_co_u32_e32 v23, vcc, v13, v23, vcc
	global_load_dwordx2 v[20:21], v[20:21], off
	v_add_u32_e32 v18, 8, v18
	global_load_dwordx2 v[22:23], v[22:23], off
	v_cmp_le_i32_e32 vcc, s10, v18
	v_add_u32_e32 v8, s6, v8
	s_or_b64 s[4:5], vcc, s[4:5]
	v_add_u32_e32 v10, s7, v10
	s_waitcnt vmcnt(0)
	v_fmac_f64_e32 v[0:1], v[20:21], v[22:23]
	s_andn2_b64 exec, exec, s[4:5]
	s_cbranch_execnz .LBB11_24
; %bb.25:
	s_or_b64 exec, exec, s[4:5]
.LBB11_26:
	s_or_b64 exec, exec, s[2:3]
	v_lshlrev_b32_e32 v8, 3, v15
	v_lshl_or_b32 v8, v14, 6, v8
	v_cmp_gt_u32_e32 vcc, 4, v15
	ds_write_b64 v8, v[0:1]
	s_waitcnt lgkmcnt(0)
	s_barrier
	s_and_saveexec_b64 s[2:3], vcc
	s_cbranch_execz .LBB11_28
; %bb.27:
	ds_read2_b64 v[10:13], v8 offset1:4
	s_waitcnt lgkmcnt(0)
	v_add_f64 v[0:1], v[12:13], v[10:11]
	ds_write_b64 v8, v[0:1]
.LBB11_28:
	s_or_b64 exec, exec, s[2:3]
	v_cmp_gt_u32_e32 vcc, 2, v15
	s_waitcnt lgkmcnt(0)
	s_barrier
	s_and_saveexec_b64 s[2:3], vcc
	s_cbranch_execz .LBB11_30
; %bb.29:
	ds_read2_b64 v[10:13], v8 offset1:2
	s_waitcnt lgkmcnt(0)
	v_add_f64 v[0:1], v[12:13], v[10:11]
	ds_write_b64 v8, v[0:1]
.LBB11_30:
	s_or_b64 exec, exec, s[2:3]
	v_cmp_eq_u32_e32 vcc, 0, v15
	v_lshlrev_b32_e32 v0, 6, v14
	s_waitcnt lgkmcnt(0)
	s_barrier
	s_and_saveexec_b64 s[2:3], vcc
	s_cbranch_execz .LBB11_32
; %bb.31:
	ds_read_b64 v[10:11], v0 offset:8
	ds_read_b64 v[12:13], v8
	s_waitcnt lgkmcnt(0)
	v_add_f64 v[10:11], v[10:11], v[12:13]
	ds_write_b64 v8, v[10:11]
.LBB11_32:
	s_or_b64 exec, exec, s[2:3]
	s_waitcnt lgkmcnt(0)
	s_barrier
	s_and_b64 exec, exec, vcc
	s_cbranch_execz .LBB11_34
; %bb.33:
	v_lshlrev_b64 v[6:7], 3, v[6:7]
	v_mov_b32_e32 v1, s1
	v_add_co_u32_e32 v6, vcc, s0, v6
	v_addc_co_u32_e32 v7, vcc, v1, v7, vcc
	global_load_dwordx2 v[8:9], v[6:7], off
	ds_read_b64 v[0:1], v0
	s_waitcnt lgkmcnt(0)
	v_mul_f64 v[0:1], v[2:3], v[0:1]
	s_waitcnt vmcnt(0)
	v_fmac_f64_e32 v[0:1], v[4:5], v[8:9]
	global_store_dwordx2 v[6:7], v[0:1], off
.LBB11_34:
	s_endpgm
	.section	.rodata,"a",@progbits
	.p2align	6, 0x0
	.amdhsa_kernel _ZN9rocsparseL17sddmm_coox_kernelILi512ELi8ELb0EdiidddEEv20rocsparse_operation_S1_16rocsparse_order_S2_T4_S3_S3_T3_NS_24const_host_device_scalarIT2_EEPKT5_lPKT6_lS7_PT7_PKS4_SH_21rocsparse_index_base_b
		.amdhsa_group_segment_fixed_size 4096
		.amdhsa_private_segment_fixed_size 0
		.amdhsa_kernarg_size 112
		.amdhsa_user_sgpr_count 6
		.amdhsa_user_sgpr_private_segment_buffer 1
		.amdhsa_user_sgpr_dispatch_ptr 0
		.amdhsa_user_sgpr_queue_ptr 0
		.amdhsa_user_sgpr_kernarg_segment_ptr 1
		.amdhsa_user_sgpr_dispatch_id 0
		.amdhsa_user_sgpr_flat_scratch_init 0
		.amdhsa_user_sgpr_kernarg_preload_length 0
		.amdhsa_user_sgpr_kernarg_preload_offset 0
		.amdhsa_user_sgpr_private_segment_size 0
		.amdhsa_uses_dynamic_stack 0
		.amdhsa_system_sgpr_private_segment_wavefront_offset 0
		.amdhsa_system_sgpr_workgroup_id_x 1
		.amdhsa_system_sgpr_workgroup_id_y 0
		.amdhsa_system_sgpr_workgroup_id_z 0
		.amdhsa_system_sgpr_workgroup_info 0
		.amdhsa_system_vgpr_workitem_id 0
		.amdhsa_next_free_vgpr 24
		.amdhsa_next_free_sgpr 24
		.amdhsa_accum_offset 24
		.amdhsa_reserve_vcc 1
		.amdhsa_reserve_flat_scratch 0
		.amdhsa_float_round_mode_32 0
		.amdhsa_float_round_mode_16_64 0
		.amdhsa_float_denorm_mode_32 3
		.amdhsa_float_denorm_mode_16_64 3
		.amdhsa_dx10_clamp 1
		.amdhsa_ieee_mode 1
		.amdhsa_fp16_overflow 0
		.amdhsa_tg_split 0
		.amdhsa_exception_fp_ieee_invalid_op 0
		.amdhsa_exception_fp_denorm_src 0
		.amdhsa_exception_fp_ieee_div_zero 0
		.amdhsa_exception_fp_ieee_overflow 0
		.amdhsa_exception_fp_ieee_underflow 0
		.amdhsa_exception_fp_ieee_inexact 0
		.amdhsa_exception_int_div_zero 0
	.end_amdhsa_kernel
	.section	.text._ZN9rocsparseL17sddmm_coox_kernelILi512ELi8ELb0EdiidddEEv20rocsparse_operation_S1_16rocsparse_order_S2_T4_S3_S3_T3_NS_24const_host_device_scalarIT2_EEPKT5_lPKT6_lS7_PT7_PKS4_SH_21rocsparse_index_base_b,"axG",@progbits,_ZN9rocsparseL17sddmm_coox_kernelILi512ELi8ELb0EdiidddEEv20rocsparse_operation_S1_16rocsparse_order_S2_T4_S3_S3_T3_NS_24const_host_device_scalarIT2_EEPKT5_lPKT6_lS7_PT7_PKS4_SH_21rocsparse_index_base_b,comdat
.Lfunc_end11:
	.size	_ZN9rocsparseL17sddmm_coox_kernelILi512ELi8ELb0EdiidddEEv20rocsparse_operation_S1_16rocsparse_order_S2_T4_S3_S3_T3_NS_24const_host_device_scalarIT2_EEPKT5_lPKT6_lS7_PT7_PKS4_SH_21rocsparse_index_base_b, .Lfunc_end11-_ZN9rocsparseL17sddmm_coox_kernelILi512ELi8ELb0EdiidddEEv20rocsparse_operation_S1_16rocsparse_order_S2_T4_S3_S3_T3_NS_24const_host_device_scalarIT2_EEPKT5_lPKT6_lS7_PT7_PKS4_SH_21rocsparse_index_base_b
                                        ; -- End function
	.section	.AMDGPU.csdata,"",@progbits
; Kernel info:
; codeLenInByte = 1076
; NumSgprs: 28
; NumVgprs: 24
; NumAgprs: 0
; TotalNumVgprs: 24
; ScratchSize: 0
; MemoryBound: 0
; FloatMode: 240
; IeeeMode: 1
; LDSByteSize: 4096 bytes/workgroup (compile time only)
; SGPRBlocks: 3
; VGPRBlocks: 2
; NumSGPRsForWavesPerEU: 28
; NumVGPRsForWavesPerEU: 24
; AccumOffset: 24
; Occupancy: 8
; WaveLimiterHint : 1
; COMPUTE_PGM_RSRC2:SCRATCH_EN: 0
; COMPUTE_PGM_RSRC2:USER_SGPR: 6
; COMPUTE_PGM_RSRC2:TRAP_HANDLER: 0
; COMPUTE_PGM_RSRC2:TGID_X_EN: 1
; COMPUTE_PGM_RSRC2:TGID_Y_EN: 0
; COMPUTE_PGM_RSRC2:TGID_Z_EN: 0
; COMPUTE_PGM_RSRC2:TIDIG_COMP_CNT: 0
; COMPUTE_PGM_RSRC3_GFX90A:ACCUM_OFFSET: 5
; COMPUTE_PGM_RSRC3_GFX90A:TG_SPLIT: 0
	.section	.text._ZN9rocsparseL17sddmm_coox_kernelILi512ELi4ELb0EdiidddEEv20rocsparse_operation_S1_16rocsparse_order_S2_T4_S3_S3_T3_NS_24const_host_device_scalarIT2_EEPKT5_lPKT6_lS7_PT7_PKS4_SH_21rocsparse_index_base_b,"axG",@progbits,_ZN9rocsparseL17sddmm_coox_kernelILi512ELi4ELb0EdiidddEEv20rocsparse_operation_S1_16rocsparse_order_S2_T4_S3_S3_T3_NS_24const_host_device_scalarIT2_EEPKT5_lPKT6_lS7_PT7_PKS4_SH_21rocsparse_index_base_b,comdat
	.globl	_ZN9rocsparseL17sddmm_coox_kernelILi512ELi4ELb0EdiidddEEv20rocsparse_operation_S1_16rocsparse_order_S2_T4_S3_S3_T3_NS_24const_host_device_scalarIT2_EEPKT5_lPKT6_lS7_PT7_PKS4_SH_21rocsparse_index_base_b ; -- Begin function _ZN9rocsparseL17sddmm_coox_kernelILi512ELi4ELb0EdiidddEEv20rocsparse_operation_S1_16rocsparse_order_S2_T4_S3_S3_T3_NS_24const_host_device_scalarIT2_EEPKT5_lPKT6_lS7_PT7_PKS4_SH_21rocsparse_index_base_b
	.p2align	8
	.type	_ZN9rocsparseL17sddmm_coox_kernelILi512ELi4ELb0EdiidddEEv20rocsparse_operation_S1_16rocsparse_order_S2_T4_S3_S3_T3_NS_24const_host_device_scalarIT2_EEPKT5_lPKT6_lS7_PT7_PKS4_SH_21rocsparse_index_base_b,@function
_ZN9rocsparseL17sddmm_coox_kernelILi512ELi4ELb0EdiidddEEv20rocsparse_operation_S1_16rocsparse_order_S2_T4_S3_S3_T3_NS_24const_host_device_scalarIT2_EEPKT5_lPKT6_lS7_PT7_PKS4_SH_21rocsparse_index_base_b: ; @_ZN9rocsparseL17sddmm_coox_kernelILi512ELi4ELb0EdiidddEEv20rocsparse_operation_S1_16rocsparse_order_S2_T4_S3_S3_T3_NS_24const_host_device_scalarIT2_EEPKT5_lPKT6_lS7_PT7_PKS4_SH_21rocsparse_index_base_b
; %bb.0:
	s_load_dwordx2 s[16:17], s[4:5], 0x68
	s_load_dwordx2 s[2:3], s[4:5], 0x20
	s_load_dwordx4 s[8:11], s[4:5], 0x40
	s_waitcnt lgkmcnt(0)
	s_bitcmp1_b32 s17, 0
	s_cselect_b64 s[12:13], -1, 0
	s_xor_b64 s[0:1], s[12:13], -1
	s_and_b64 vcc, exec, s[12:13]
	v_pk_mov_b32 v[2:3], s[2:3], s[2:3] op_sel:[0,1]
	s_cbranch_vccnz .LBB12_2
; %bb.1:
	v_pk_mov_b32 v[2:3], s[2:3], s[2:3] op_sel:[0,1]
	flat_load_dwordx2 v[2:3], v[2:3]
.LBB12_2:
	s_andn2_b64 vcc, exec, s[0:1]
	v_pk_mov_b32 v[4:5], s[10:11], s[10:11] op_sel:[0,1]
	s_cbranch_vccnz .LBB12_4
; %bb.3:
	v_pk_mov_b32 v[4:5], s[10:11], s[10:11] op_sel:[0,1]
	flat_load_dwordx2 v[4:5], v[4:5]
.LBB12_4:
	s_waitcnt vmcnt(0) lgkmcnt(0)
	v_cmp_neq_f64_e32 vcc, 0, v[2:3]
	v_cmp_neq_f64_e64 s[0:1], 1.0, v[4:5]
	s_or_b64 s[0:1], vcc, s[0:1]
	s_and_saveexec_b64 s[2:3], s[0:1]
	s_cbranch_execz .LBB12_32
; %bb.5:
	s_load_dwordx2 s[10:11], s[4:5], 0x18
	v_lshrrev_b32_e32 v14, 2, v0
	v_lshl_or_b32 v6, s6, 7, v14
	s_waitcnt lgkmcnt(0)
	v_cmp_gt_i32_e32 vcc, s11, v6
	s_and_b64 exec, exec, vcc
	s_cbranch_execz .LBB12_32
; %bb.6:
	s_load_dwordx4 s[0:3], s[4:5], 0x58
	v_ashrrev_i32_e32 v7, 31, v6
	v_lshlrev_b64 v[8:9], 2, v[6:7]
	s_waitcnt lgkmcnt(0)
	v_mov_b32_e32 v1, s1
	v_add_co_u32_e32 v10, vcc, s0, v8
	v_addc_co_u32_e32 v11, vcc, v1, v9, vcc
	global_load_dword v10, v[10:11], off
	v_mov_b32_e32 v1, s3
	v_add_co_u32_e32 v8, vcc, s2, v8
	v_addc_co_u32_e32 v9, vcc, v1, v9, vcc
	global_load_dword v1, v[8:9], off
	s_load_dwordx4 s[0:3], s[4:5], 0x0
	s_load_dwordx2 s[6:7], s[4:5], 0x30
	s_waitcnt lgkmcnt(0)
	s_cmp_eq_u32 s2, 1
	s_cselect_b64 s[12:13], -1, 0
	s_cmpk_eq_i32 s0, 0x6f
	s_cselect_b64 s[14:15], -1, 0
	s_cmpk_lg_i32 s0, 0x6f
	s_cselect_b64 s[18:19], -1, 0
	s_cmp_lg_u32 s2, 1
	s_waitcnt vmcnt(1)
	v_subrev_u32_e32 v10, s16, v10
	v_ashrrev_i32_e32 v11, 31, v10
	s_cbranch_scc0 .LBB12_10
; %bb.7:
	s_andn2_b64 vcc, exec, s[14:15]
	v_pk_mov_b32 v[8:9], v[10:11], v[10:11] op_sel:[0,1]
	s_cbranch_vccnz .LBB12_9
; %bb.8:
	v_mul_lo_u32 v12, v11, s6
	v_mul_lo_u32 v13, v10, s7
	v_mad_u64_u32 v[8:9], s[20:21], v10, s6, 0
	v_add3_u32 v9, v9, v13, v12
.LBB12_9:
	s_cbranch_execz .LBB12_11
	s_branch .LBB12_14
.LBB12_10:
                                        ; implicit-def: $vgpr8_vgpr9
.LBB12_11:
	s_andn2_b64 vcc, exec, s[18:19]
	s_cbranch_vccnz .LBB12_13
; %bb.12:
	v_mul_lo_u32 v8, v11, s6
	v_mul_lo_u32 v9, v10, s7
	v_mad_u64_u32 v[10:11], s[18:19], v10, s6, 0
	v_add3_u32 v11, v11, v9, v8
.LBB12_13:
	v_pk_mov_b32 v[8:9], v[10:11], v[10:11] op_sel:[0,1]
.LBB12_14:
	s_cmp_eq_u32 s3, 1
	s_waitcnt vmcnt(0)
	v_subrev_u32_e32 v10, s16, v1
	s_cselect_b64 s[16:17], -1, 0
	s_cmpk_eq_i32 s1, 0x6f
	s_cselect_b64 s[18:19], -1, 0
	s_cmpk_lg_i32 s1, 0x6f
	s_cselect_b64 s[0:1], -1, 0
	s_cmp_lg_u32 s3, 1
	v_ashrrev_i32_e32 v11, 31, v10
	s_cbranch_scc0 .LBB12_18
; %bb.15:
	s_andn2_b64 vcc, exec, s[0:1]
	v_pk_mov_b32 v[12:13], v[10:11], v[10:11] op_sel:[0,1]
	s_cbranch_vccnz .LBB12_17
; %bb.16:
	v_mul_lo_u32 v1, v11, s8
	v_mul_lo_u32 v15, v10, s9
	v_mad_u64_u32 v[12:13], s[0:1], v10, s8, 0
	v_add3_u32 v13, v13, v15, v1
.LBB12_17:
	s_cbranch_execz .LBB12_19
	s_branch .LBB12_22
.LBB12_18:
                                        ; implicit-def: $vgpr12_vgpr13
.LBB12_19:
	s_andn2_b64 vcc, exec, s[18:19]
	s_cbranch_vccnz .LBB12_21
; %bb.20:
	v_mul_lo_u32 v1, v11, s8
	v_mul_lo_u32 v12, v10, s9
	v_mad_u64_u32 v[10:11], s[0:1], v10, s8, 0
	v_add3_u32 v11, v11, v12, v1
.LBB12_21:
	v_pk_mov_b32 v[12:13], v[10:11], v[10:11] op_sel:[0,1]
.LBB12_22:
	s_load_dwordx2 s[0:1], s[4:5], 0x50
	v_and_b32_e32 v15, 3, v0
	v_cmp_gt_i32_e32 vcc, s10, v15
	v_pk_mov_b32 v[0:1], 0, 0
	s_and_saveexec_b64 s[2:3], vcc
	s_cbranch_execz .LBB12_26
; %bb.23:
	s_load_dwordx2 s[20:21], s[4:5], 0x38
	s_load_dwordx2 s[22:23], s[4:5], 0x28
	s_xor_b64 s[4:5], s[14:15], s[12:13]
	v_lshlrev_b64 v[0:1], 3, v[12:13]
	s_and_b64 s[4:5], s[4:5], exec
	s_waitcnt lgkmcnt(0)
	v_mov_b32_e32 v10, s21
	v_add_co_u32_e32 v12, vcc, s20, v0
	s_cselect_b32 s7, 1, s6
	s_xor_b64 s[4:5], s[18:19], s[16:17]
	v_addc_co_u32_e32 v13, vcc, v10, v1, vcc
	v_lshlrev_b64 v[0:1], 3, v[8:9]
	s_and_b64 s[4:5], s[4:5], exec
	v_mov_b32_e32 v8, s23
	v_add_co_u32_e32 v16, vcc, s22, v0
	s_cselect_b32 s4, s8, 1
	v_addc_co_u32_e32 v17, vcc, v8, v1, vcc
	v_mul_lo_u32 v8, s4, v15
	s_lshl_b32 s6, s4, 2
	v_mul_lo_u32 v10, s7, v15
	s_lshl_b32 s7, s7, 2
	s_mov_b64 s[4:5], 0
	v_pk_mov_b32 v[0:1], 0, 0
	v_mov_b32_e32 v18, v15
.LBB12_24:                              ; =>This Inner Loop Header: Depth=1
	v_ashrrev_i32_e32 v11, 31, v10
	v_lshlrev_b64 v[20:21], 3, v[10:11]
	v_add_co_u32_e32 v20, vcc, v16, v20
	v_ashrrev_i32_e32 v9, 31, v8
	v_addc_co_u32_e32 v21, vcc, v17, v21, vcc
	v_lshlrev_b64 v[22:23], 3, v[8:9]
	v_add_co_u32_e32 v22, vcc, v12, v22
	v_addc_co_u32_e32 v23, vcc, v13, v23, vcc
	global_load_dwordx2 v[20:21], v[20:21], off
	v_add_u32_e32 v18, 4, v18
	global_load_dwordx2 v[22:23], v[22:23], off
	v_cmp_le_i32_e32 vcc, s10, v18
	v_add_u32_e32 v8, s6, v8
	s_or_b64 s[4:5], vcc, s[4:5]
	v_add_u32_e32 v10, s7, v10
	s_waitcnt vmcnt(0)
	v_fmac_f64_e32 v[0:1], v[20:21], v[22:23]
	s_andn2_b64 exec, exec, s[4:5]
	s_cbranch_execnz .LBB12_24
; %bb.25:
	s_or_b64 exec, exec, s[4:5]
.LBB12_26:
	s_or_b64 exec, exec, s[2:3]
	v_lshlrev_b32_e32 v8, 3, v15
	v_lshl_or_b32 v8, v14, 5, v8
	v_cmp_gt_u32_e32 vcc, 2, v15
	ds_write_b64 v8, v[0:1]
	s_waitcnt lgkmcnt(0)
	s_barrier
	s_and_saveexec_b64 s[2:3], vcc
	s_cbranch_execz .LBB12_28
; %bb.27:
	ds_read2_b64 v[10:13], v8 offset1:2
	s_waitcnt lgkmcnt(0)
	v_add_f64 v[0:1], v[12:13], v[10:11]
	ds_write_b64 v8, v[0:1]
.LBB12_28:
	s_or_b64 exec, exec, s[2:3]
	v_cmp_eq_u32_e32 vcc, 0, v15
	v_lshlrev_b32_e32 v0, 5, v14
	s_waitcnt lgkmcnt(0)
	s_barrier
	s_and_saveexec_b64 s[2:3], vcc
	s_cbranch_execz .LBB12_30
; %bb.29:
	ds_read_b64 v[10:11], v0 offset:8
	ds_read_b64 v[12:13], v8
	s_waitcnt lgkmcnt(0)
	v_add_f64 v[10:11], v[10:11], v[12:13]
	ds_write_b64 v8, v[10:11]
.LBB12_30:
	s_or_b64 exec, exec, s[2:3]
	s_waitcnt lgkmcnt(0)
	s_barrier
	s_and_b64 exec, exec, vcc
	s_cbranch_execz .LBB12_32
; %bb.31:
	v_lshlrev_b64 v[6:7], 3, v[6:7]
	v_mov_b32_e32 v1, s1
	v_add_co_u32_e32 v6, vcc, s0, v6
	v_addc_co_u32_e32 v7, vcc, v1, v7, vcc
	global_load_dwordx2 v[8:9], v[6:7], off
	ds_read_b64 v[0:1], v0
	s_waitcnt lgkmcnt(0)
	v_mul_f64 v[0:1], v[2:3], v[0:1]
	s_waitcnt vmcnt(0)
	v_fmac_f64_e32 v[0:1], v[4:5], v[8:9]
	global_store_dwordx2 v[6:7], v[0:1], off
.LBB12_32:
	s_endpgm
	.section	.rodata,"a",@progbits
	.p2align	6, 0x0
	.amdhsa_kernel _ZN9rocsparseL17sddmm_coox_kernelILi512ELi4ELb0EdiidddEEv20rocsparse_operation_S1_16rocsparse_order_S2_T4_S3_S3_T3_NS_24const_host_device_scalarIT2_EEPKT5_lPKT6_lS7_PT7_PKS4_SH_21rocsparse_index_base_b
		.amdhsa_group_segment_fixed_size 4096
		.amdhsa_private_segment_fixed_size 0
		.amdhsa_kernarg_size 112
		.amdhsa_user_sgpr_count 6
		.amdhsa_user_sgpr_private_segment_buffer 1
		.amdhsa_user_sgpr_dispatch_ptr 0
		.amdhsa_user_sgpr_queue_ptr 0
		.amdhsa_user_sgpr_kernarg_segment_ptr 1
		.amdhsa_user_sgpr_dispatch_id 0
		.amdhsa_user_sgpr_flat_scratch_init 0
		.amdhsa_user_sgpr_kernarg_preload_length 0
		.amdhsa_user_sgpr_kernarg_preload_offset 0
		.amdhsa_user_sgpr_private_segment_size 0
		.amdhsa_uses_dynamic_stack 0
		.amdhsa_system_sgpr_private_segment_wavefront_offset 0
		.amdhsa_system_sgpr_workgroup_id_x 1
		.amdhsa_system_sgpr_workgroup_id_y 0
		.amdhsa_system_sgpr_workgroup_id_z 0
		.amdhsa_system_sgpr_workgroup_info 0
		.amdhsa_system_vgpr_workitem_id 0
		.amdhsa_next_free_vgpr 24
		.amdhsa_next_free_sgpr 24
		.amdhsa_accum_offset 24
		.amdhsa_reserve_vcc 1
		.amdhsa_reserve_flat_scratch 0
		.amdhsa_float_round_mode_32 0
		.amdhsa_float_round_mode_16_64 0
		.amdhsa_float_denorm_mode_32 3
		.amdhsa_float_denorm_mode_16_64 3
		.amdhsa_dx10_clamp 1
		.amdhsa_ieee_mode 1
		.amdhsa_fp16_overflow 0
		.amdhsa_tg_split 0
		.amdhsa_exception_fp_ieee_invalid_op 0
		.amdhsa_exception_fp_denorm_src 0
		.amdhsa_exception_fp_ieee_div_zero 0
		.amdhsa_exception_fp_ieee_overflow 0
		.amdhsa_exception_fp_ieee_underflow 0
		.amdhsa_exception_fp_ieee_inexact 0
		.amdhsa_exception_int_div_zero 0
	.end_amdhsa_kernel
	.section	.text._ZN9rocsparseL17sddmm_coox_kernelILi512ELi4ELb0EdiidddEEv20rocsparse_operation_S1_16rocsparse_order_S2_T4_S3_S3_T3_NS_24const_host_device_scalarIT2_EEPKT5_lPKT6_lS7_PT7_PKS4_SH_21rocsparse_index_base_b,"axG",@progbits,_ZN9rocsparseL17sddmm_coox_kernelILi512ELi4ELb0EdiidddEEv20rocsparse_operation_S1_16rocsparse_order_S2_T4_S3_S3_T3_NS_24const_host_device_scalarIT2_EEPKT5_lPKT6_lS7_PT7_PKS4_SH_21rocsparse_index_base_b,comdat
.Lfunc_end12:
	.size	_ZN9rocsparseL17sddmm_coox_kernelILi512ELi4ELb0EdiidddEEv20rocsparse_operation_S1_16rocsparse_order_S2_T4_S3_S3_T3_NS_24const_host_device_scalarIT2_EEPKT5_lPKT6_lS7_PT7_PKS4_SH_21rocsparse_index_base_b, .Lfunc_end12-_ZN9rocsparseL17sddmm_coox_kernelILi512ELi4ELb0EdiidddEEv20rocsparse_operation_S1_16rocsparse_order_S2_T4_S3_S3_T3_NS_24const_host_device_scalarIT2_EEPKT5_lPKT6_lS7_PT7_PKS4_SH_21rocsparse_index_base_b
                                        ; -- End function
	.section	.AMDGPU.csdata,"",@progbits
; Kernel info:
; codeLenInByte = 1024
; NumSgprs: 28
; NumVgprs: 24
; NumAgprs: 0
; TotalNumVgprs: 24
; ScratchSize: 0
; MemoryBound: 0
; FloatMode: 240
; IeeeMode: 1
; LDSByteSize: 4096 bytes/workgroup (compile time only)
; SGPRBlocks: 3
; VGPRBlocks: 2
; NumSGPRsForWavesPerEU: 28
; NumVGPRsForWavesPerEU: 24
; AccumOffset: 24
; Occupancy: 8
; WaveLimiterHint : 1
; COMPUTE_PGM_RSRC2:SCRATCH_EN: 0
; COMPUTE_PGM_RSRC2:USER_SGPR: 6
; COMPUTE_PGM_RSRC2:TRAP_HANDLER: 0
; COMPUTE_PGM_RSRC2:TGID_X_EN: 1
; COMPUTE_PGM_RSRC2:TGID_Y_EN: 0
; COMPUTE_PGM_RSRC2:TGID_Z_EN: 0
; COMPUTE_PGM_RSRC2:TIDIG_COMP_CNT: 0
; COMPUTE_PGM_RSRC3_GFX90A:ACCUM_OFFSET: 5
; COMPUTE_PGM_RSRC3_GFX90A:TG_SPLIT: 0
	.section	.text._ZN9rocsparseL17sddmm_coox_kernelILi512ELi2ELb0EdiidddEEv20rocsparse_operation_S1_16rocsparse_order_S2_T4_S3_S3_T3_NS_24const_host_device_scalarIT2_EEPKT5_lPKT6_lS7_PT7_PKS4_SH_21rocsparse_index_base_b,"axG",@progbits,_ZN9rocsparseL17sddmm_coox_kernelILi512ELi2ELb0EdiidddEEv20rocsparse_operation_S1_16rocsparse_order_S2_T4_S3_S3_T3_NS_24const_host_device_scalarIT2_EEPKT5_lPKT6_lS7_PT7_PKS4_SH_21rocsparse_index_base_b,comdat
	.globl	_ZN9rocsparseL17sddmm_coox_kernelILi512ELi2ELb0EdiidddEEv20rocsparse_operation_S1_16rocsparse_order_S2_T4_S3_S3_T3_NS_24const_host_device_scalarIT2_EEPKT5_lPKT6_lS7_PT7_PKS4_SH_21rocsparse_index_base_b ; -- Begin function _ZN9rocsparseL17sddmm_coox_kernelILi512ELi2ELb0EdiidddEEv20rocsparse_operation_S1_16rocsparse_order_S2_T4_S3_S3_T3_NS_24const_host_device_scalarIT2_EEPKT5_lPKT6_lS7_PT7_PKS4_SH_21rocsparse_index_base_b
	.p2align	8
	.type	_ZN9rocsparseL17sddmm_coox_kernelILi512ELi2ELb0EdiidddEEv20rocsparse_operation_S1_16rocsparse_order_S2_T4_S3_S3_T3_NS_24const_host_device_scalarIT2_EEPKT5_lPKT6_lS7_PT7_PKS4_SH_21rocsparse_index_base_b,@function
_ZN9rocsparseL17sddmm_coox_kernelILi512ELi2ELb0EdiidddEEv20rocsparse_operation_S1_16rocsparse_order_S2_T4_S3_S3_T3_NS_24const_host_device_scalarIT2_EEPKT5_lPKT6_lS7_PT7_PKS4_SH_21rocsparse_index_base_b: ; @_ZN9rocsparseL17sddmm_coox_kernelILi512ELi2ELb0EdiidddEEv20rocsparse_operation_S1_16rocsparse_order_S2_T4_S3_S3_T3_NS_24const_host_device_scalarIT2_EEPKT5_lPKT6_lS7_PT7_PKS4_SH_21rocsparse_index_base_b
; %bb.0:
	s_load_dwordx2 s[16:17], s[4:5], 0x68
	s_load_dwordx2 s[2:3], s[4:5], 0x20
	s_load_dwordx4 s[8:11], s[4:5], 0x40
	s_waitcnt lgkmcnt(0)
	s_bitcmp1_b32 s17, 0
	s_cselect_b64 s[12:13], -1, 0
	s_xor_b64 s[0:1], s[12:13], -1
	s_and_b64 vcc, exec, s[12:13]
	v_pk_mov_b32 v[2:3], s[2:3], s[2:3] op_sel:[0,1]
	s_cbranch_vccnz .LBB13_2
; %bb.1:
	v_pk_mov_b32 v[2:3], s[2:3], s[2:3] op_sel:[0,1]
	flat_load_dwordx2 v[2:3], v[2:3]
.LBB13_2:
	s_andn2_b64 vcc, exec, s[0:1]
	v_pk_mov_b32 v[4:5], s[10:11], s[10:11] op_sel:[0,1]
	s_cbranch_vccnz .LBB13_4
; %bb.3:
	v_pk_mov_b32 v[4:5], s[10:11], s[10:11] op_sel:[0,1]
	flat_load_dwordx2 v[4:5], v[4:5]
.LBB13_4:
	s_waitcnt vmcnt(0) lgkmcnt(0)
	v_cmp_neq_f64_e32 vcc, 0, v[2:3]
	v_cmp_neq_f64_e64 s[0:1], 1.0, v[4:5]
	s_or_b64 s[0:1], vcc, s[0:1]
	s_and_saveexec_b64 s[2:3], s[0:1]
	s_cbranch_execz .LBB13_30
; %bb.5:
	s_load_dwordx2 s[10:11], s[4:5], 0x18
	v_lshrrev_b32_e32 v14, 1, v0
	v_lshl_or_b32 v6, s6, 8, v14
	s_waitcnt lgkmcnt(0)
	v_cmp_gt_i32_e32 vcc, s11, v6
	s_and_b64 exec, exec, vcc
	s_cbranch_execz .LBB13_30
; %bb.6:
	s_load_dwordx4 s[0:3], s[4:5], 0x58
	v_ashrrev_i32_e32 v7, 31, v6
	v_lshlrev_b64 v[8:9], 2, v[6:7]
	s_waitcnt lgkmcnt(0)
	v_mov_b32_e32 v1, s1
	v_add_co_u32_e32 v10, vcc, s0, v8
	v_addc_co_u32_e32 v11, vcc, v1, v9, vcc
	global_load_dword v10, v[10:11], off
	v_mov_b32_e32 v1, s3
	v_add_co_u32_e32 v8, vcc, s2, v8
	v_addc_co_u32_e32 v9, vcc, v1, v9, vcc
	global_load_dword v1, v[8:9], off
	s_load_dwordx4 s[0:3], s[4:5], 0x0
	s_load_dwordx2 s[6:7], s[4:5], 0x30
	s_waitcnt lgkmcnt(0)
	s_cmp_eq_u32 s2, 1
	s_cselect_b64 s[12:13], -1, 0
	s_cmpk_eq_i32 s0, 0x6f
	s_cselect_b64 s[14:15], -1, 0
	s_cmpk_lg_i32 s0, 0x6f
	s_cselect_b64 s[18:19], -1, 0
	s_cmp_lg_u32 s2, 1
	s_waitcnt vmcnt(1)
	v_subrev_u32_e32 v10, s16, v10
	v_ashrrev_i32_e32 v11, 31, v10
	s_cbranch_scc0 .LBB13_10
; %bb.7:
	s_andn2_b64 vcc, exec, s[14:15]
	v_pk_mov_b32 v[8:9], v[10:11], v[10:11] op_sel:[0,1]
	s_cbranch_vccnz .LBB13_9
; %bb.8:
	v_mul_lo_u32 v12, v11, s6
	v_mul_lo_u32 v13, v10, s7
	v_mad_u64_u32 v[8:9], s[20:21], v10, s6, 0
	v_add3_u32 v9, v9, v13, v12
.LBB13_9:
	s_cbranch_execz .LBB13_11
	s_branch .LBB13_14
.LBB13_10:
                                        ; implicit-def: $vgpr8_vgpr9
.LBB13_11:
	s_andn2_b64 vcc, exec, s[18:19]
	s_cbranch_vccnz .LBB13_13
; %bb.12:
	v_mul_lo_u32 v8, v11, s6
	v_mul_lo_u32 v9, v10, s7
	v_mad_u64_u32 v[10:11], s[18:19], v10, s6, 0
	v_add3_u32 v11, v11, v9, v8
.LBB13_13:
	v_pk_mov_b32 v[8:9], v[10:11], v[10:11] op_sel:[0,1]
.LBB13_14:
	s_cmp_eq_u32 s3, 1
	s_waitcnt vmcnt(0)
	v_subrev_u32_e32 v10, s16, v1
	s_cselect_b64 s[16:17], -1, 0
	s_cmpk_eq_i32 s1, 0x6f
	s_cselect_b64 s[18:19], -1, 0
	s_cmpk_lg_i32 s1, 0x6f
	s_cselect_b64 s[0:1], -1, 0
	s_cmp_lg_u32 s3, 1
	v_ashrrev_i32_e32 v11, 31, v10
	s_cbranch_scc0 .LBB13_18
; %bb.15:
	s_andn2_b64 vcc, exec, s[0:1]
	v_pk_mov_b32 v[12:13], v[10:11], v[10:11] op_sel:[0,1]
	s_cbranch_vccnz .LBB13_17
; %bb.16:
	v_mul_lo_u32 v1, v11, s8
	v_mul_lo_u32 v15, v10, s9
	v_mad_u64_u32 v[12:13], s[0:1], v10, s8, 0
	v_add3_u32 v13, v13, v15, v1
.LBB13_17:
	s_cbranch_execz .LBB13_19
	s_branch .LBB13_22
.LBB13_18:
                                        ; implicit-def: $vgpr12_vgpr13
.LBB13_19:
	s_andn2_b64 vcc, exec, s[18:19]
	s_cbranch_vccnz .LBB13_21
; %bb.20:
	v_mul_lo_u32 v1, v11, s8
	v_mul_lo_u32 v12, v10, s9
	v_mad_u64_u32 v[10:11], s[0:1], v10, s8, 0
	v_add3_u32 v11, v11, v12, v1
.LBB13_21:
	v_pk_mov_b32 v[12:13], v[10:11], v[10:11] op_sel:[0,1]
.LBB13_22:
	s_load_dwordx2 s[0:1], s[4:5], 0x50
	v_and_b32_e32 v15, 1, v0
	v_cmp_gt_i32_e32 vcc, s10, v15
	v_pk_mov_b32 v[0:1], 0, 0
	s_and_saveexec_b64 s[2:3], vcc
	s_cbranch_execz .LBB13_26
; %bb.23:
	s_load_dwordx2 s[20:21], s[4:5], 0x38
	s_load_dwordx2 s[22:23], s[4:5], 0x28
	s_xor_b64 s[4:5], s[14:15], s[12:13]
	v_lshlrev_b64 v[0:1], 3, v[12:13]
	s_and_b64 s[4:5], s[4:5], exec
	s_waitcnt lgkmcnt(0)
	v_mov_b32_e32 v10, s21
	v_add_co_u32_e32 v12, vcc, s20, v0
	s_cselect_b32 s7, 1, s6
	s_xor_b64 s[4:5], s[18:19], s[16:17]
	v_addc_co_u32_e32 v13, vcc, v10, v1, vcc
	v_lshlrev_b64 v[0:1], 3, v[8:9]
	s_and_b64 s[4:5], s[4:5], exec
	v_mov_b32_e32 v8, s23
	v_add_co_u32_e32 v16, vcc, s22, v0
	s_cselect_b32 s4, s8, 1
	v_addc_co_u32_e32 v17, vcc, v8, v1, vcc
	v_mul_lo_u32 v8, s4, v15
	s_lshl_b32 s6, s4, 1
	v_mul_lo_u32 v10, s7, v15
	s_lshl_b32 s7, s7, 1
	s_mov_b64 s[4:5], 0
	v_pk_mov_b32 v[0:1], 0, 0
	v_mov_b32_e32 v18, v15
.LBB13_24:                              ; =>This Inner Loop Header: Depth=1
	v_ashrrev_i32_e32 v11, 31, v10
	v_lshlrev_b64 v[20:21], 3, v[10:11]
	v_add_co_u32_e32 v20, vcc, v16, v20
	v_ashrrev_i32_e32 v9, 31, v8
	v_addc_co_u32_e32 v21, vcc, v17, v21, vcc
	v_lshlrev_b64 v[22:23], 3, v[8:9]
	v_add_co_u32_e32 v22, vcc, v12, v22
	v_addc_co_u32_e32 v23, vcc, v13, v23, vcc
	global_load_dwordx2 v[20:21], v[20:21], off
	v_add_u32_e32 v18, 2, v18
	global_load_dwordx2 v[22:23], v[22:23], off
	v_cmp_le_i32_e32 vcc, s10, v18
	v_add_u32_e32 v8, s6, v8
	s_or_b64 s[4:5], vcc, s[4:5]
	v_add_u32_e32 v10, s7, v10
	s_waitcnt vmcnt(0)
	v_fmac_f64_e32 v[0:1], v[20:21], v[22:23]
	s_andn2_b64 exec, exec, s[4:5]
	s_cbranch_execnz .LBB13_24
; %bb.25:
	s_or_b64 exec, exec, s[4:5]
.LBB13_26:
	s_or_b64 exec, exec, s[2:3]
	v_lshlrev_b32_e32 v8, 4, v14
	v_lshl_or_b32 v9, v15, 3, v8
	v_cmp_eq_u32_e32 vcc, 0, v15
	ds_write_b64 v9, v[0:1]
	s_waitcnt lgkmcnt(0)
	s_barrier
	s_and_saveexec_b64 s[2:3], vcc
	s_cbranch_execz .LBB13_28
; %bb.27:
	ds_read_b64 v[0:1], v8 offset:8
	ds_read_b64 v[10:11], v9
	s_waitcnt lgkmcnt(0)
	v_add_f64 v[0:1], v[0:1], v[10:11]
	ds_write_b64 v9, v[0:1]
.LBB13_28:
	s_or_b64 exec, exec, s[2:3]
	s_waitcnt lgkmcnt(0)
	s_barrier
	s_and_b64 exec, exec, vcc
	s_cbranch_execz .LBB13_30
; %bb.29:
	v_lshlrev_b64 v[0:1], 3, v[6:7]
	v_mov_b32_e32 v6, s1
	v_add_co_u32_e32 v0, vcc, s0, v0
	v_addc_co_u32_e32 v1, vcc, v6, v1, vcc
	global_load_dwordx2 v[6:7], v[0:1], off
	ds_read_b64 v[8:9], v8
	s_waitcnt lgkmcnt(0)
	v_mul_f64 v[2:3], v[2:3], v[8:9]
	s_waitcnt vmcnt(0)
	v_fmac_f64_e32 v[2:3], v[4:5], v[6:7]
	global_store_dwordx2 v[0:1], v[2:3], off
.LBB13_30:
	s_endpgm
	.section	.rodata,"a",@progbits
	.p2align	6, 0x0
	.amdhsa_kernel _ZN9rocsparseL17sddmm_coox_kernelILi512ELi2ELb0EdiidddEEv20rocsparse_operation_S1_16rocsparse_order_S2_T4_S3_S3_T3_NS_24const_host_device_scalarIT2_EEPKT5_lPKT6_lS7_PT7_PKS4_SH_21rocsparse_index_base_b
		.amdhsa_group_segment_fixed_size 4096
		.amdhsa_private_segment_fixed_size 0
		.amdhsa_kernarg_size 112
		.amdhsa_user_sgpr_count 6
		.amdhsa_user_sgpr_private_segment_buffer 1
		.amdhsa_user_sgpr_dispatch_ptr 0
		.amdhsa_user_sgpr_queue_ptr 0
		.amdhsa_user_sgpr_kernarg_segment_ptr 1
		.amdhsa_user_sgpr_dispatch_id 0
		.amdhsa_user_sgpr_flat_scratch_init 0
		.amdhsa_user_sgpr_kernarg_preload_length 0
		.amdhsa_user_sgpr_kernarg_preload_offset 0
		.amdhsa_user_sgpr_private_segment_size 0
		.amdhsa_uses_dynamic_stack 0
		.amdhsa_system_sgpr_private_segment_wavefront_offset 0
		.amdhsa_system_sgpr_workgroup_id_x 1
		.amdhsa_system_sgpr_workgroup_id_y 0
		.amdhsa_system_sgpr_workgroup_id_z 0
		.amdhsa_system_sgpr_workgroup_info 0
		.amdhsa_system_vgpr_workitem_id 0
		.amdhsa_next_free_vgpr 24
		.amdhsa_next_free_sgpr 24
		.amdhsa_accum_offset 24
		.amdhsa_reserve_vcc 1
		.amdhsa_reserve_flat_scratch 0
		.amdhsa_float_round_mode_32 0
		.amdhsa_float_round_mode_16_64 0
		.amdhsa_float_denorm_mode_32 3
		.amdhsa_float_denorm_mode_16_64 3
		.amdhsa_dx10_clamp 1
		.amdhsa_ieee_mode 1
		.amdhsa_fp16_overflow 0
		.amdhsa_tg_split 0
		.amdhsa_exception_fp_ieee_invalid_op 0
		.amdhsa_exception_fp_denorm_src 0
		.amdhsa_exception_fp_ieee_div_zero 0
		.amdhsa_exception_fp_ieee_overflow 0
		.amdhsa_exception_fp_ieee_underflow 0
		.amdhsa_exception_fp_ieee_inexact 0
		.amdhsa_exception_int_div_zero 0
	.end_amdhsa_kernel
	.section	.text._ZN9rocsparseL17sddmm_coox_kernelILi512ELi2ELb0EdiidddEEv20rocsparse_operation_S1_16rocsparse_order_S2_T4_S3_S3_T3_NS_24const_host_device_scalarIT2_EEPKT5_lPKT6_lS7_PT7_PKS4_SH_21rocsparse_index_base_b,"axG",@progbits,_ZN9rocsparseL17sddmm_coox_kernelILi512ELi2ELb0EdiidddEEv20rocsparse_operation_S1_16rocsparse_order_S2_T4_S3_S3_T3_NS_24const_host_device_scalarIT2_EEPKT5_lPKT6_lS7_PT7_PKS4_SH_21rocsparse_index_base_b,comdat
.Lfunc_end13:
	.size	_ZN9rocsparseL17sddmm_coox_kernelILi512ELi2ELb0EdiidddEEv20rocsparse_operation_S1_16rocsparse_order_S2_T4_S3_S3_T3_NS_24const_host_device_scalarIT2_EEPKT5_lPKT6_lS7_PT7_PKS4_SH_21rocsparse_index_base_b, .Lfunc_end13-_ZN9rocsparseL17sddmm_coox_kernelILi512ELi2ELb0EdiidddEEv20rocsparse_operation_S1_16rocsparse_order_S2_T4_S3_S3_T3_NS_24const_host_device_scalarIT2_EEPKT5_lPKT6_lS7_PT7_PKS4_SH_21rocsparse_index_base_b
                                        ; -- End function
	.section	.AMDGPU.csdata,"",@progbits
; Kernel info:
; codeLenInByte = 968
; NumSgprs: 28
; NumVgprs: 24
; NumAgprs: 0
; TotalNumVgprs: 24
; ScratchSize: 0
; MemoryBound: 0
; FloatMode: 240
; IeeeMode: 1
; LDSByteSize: 4096 bytes/workgroup (compile time only)
; SGPRBlocks: 3
; VGPRBlocks: 2
; NumSGPRsForWavesPerEU: 28
; NumVGPRsForWavesPerEU: 24
; AccumOffset: 24
; Occupancy: 8
; WaveLimiterHint : 1
; COMPUTE_PGM_RSRC2:SCRATCH_EN: 0
; COMPUTE_PGM_RSRC2:USER_SGPR: 6
; COMPUTE_PGM_RSRC2:TRAP_HANDLER: 0
; COMPUTE_PGM_RSRC2:TGID_X_EN: 1
; COMPUTE_PGM_RSRC2:TGID_Y_EN: 0
; COMPUTE_PGM_RSRC2:TGID_Z_EN: 0
; COMPUTE_PGM_RSRC2:TIDIG_COMP_CNT: 0
; COMPUTE_PGM_RSRC3_GFX90A:ACCUM_OFFSET: 5
; COMPUTE_PGM_RSRC3_GFX90A:TG_SPLIT: 0
	.section	.text._ZN9rocsparseL17sddmm_coox_kernelILi512ELi1ELb0EdiidddEEv20rocsparse_operation_S1_16rocsparse_order_S2_T4_S3_S3_T3_NS_24const_host_device_scalarIT2_EEPKT5_lPKT6_lS7_PT7_PKS4_SH_21rocsparse_index_base_b,"axG",@progbits,_ZN9rocsparseL17sddmm_coox_kernelILi512ELi1ELb0EdiidddEEv20rocsparse_operation_S1_16rocsparse_order_S2_T4_S3_S3_T3_NS_24const_host_device_scalarIT2_EEPKT5_lPKT6_lS7_PT7_PKS4_SH_21rocsparse_index_base_b,comdat
	.globl	_ZN9rocsparseL17sddmm_coox_kernelILi512ELi1ELb0EdiidddEEv20rocsparse_operation_S1_16rocsparse_order_S2_T4_S3_S3_T3_NS_24const_host_device_scalarIT2_EEPKT5_lPKT6_lS7_PT7_PKS4_SH_21rocsparse_index_base_b ; -- Begin function _ZN9rocsparseL17sddmm_coox_kernelILi512ELi1ELb0EdiidddEEv20rocsparse_operation_S1_16rocsparse_order_S2_T4_S3_S3_T3_NS_24const_host_device_scalarIT2_EEPKT5_lPKT6_lS7_PT7_PKS4_SH_21rocsparse_index_base_b
	.p2align	8
	.type	_ZN9rocsparseL17sddmm_coox_kernelILi512ELi1ELb0EdiidddEEv20rocsparse_operation_S1_16rocsparse_order_S2_T4_S3_S3_T3_NS_24const_host_device_scalarIT2_EEPKT5_lPKT6_lS7_PT7_PKS4_SH_21rocsparse_index_base_b,@function
_ZN9rocsparseL17sddmm_coox_kernelILi512ELi1ELb0EdiidddEEv20rocsparse_operation_S1_16rocsparse_order_S2_T4_S3_S3_T3_NS_24const_host_device_scalarIT2_EEPKT5_lPKT6_lS7_PT7_PKS4_SH_21rocsparse_index_base_b: ; @_ZN9rocsparseL17sddmm_coox_kernelILi512ELi1ELb0EdiidddEEv20rocsparse_operation_S1_16rocsparse_order_S2_T4_S3_S3_T3_NS_24const_host_device_scalarIT2_EEPKT5_lPKT6_lS7_PT7_PKS4_SH_21rocsparse_index_base_b
; %bb.0:
	s_load_dwordx2 s[16:17], s[4:5], 0x68
	s_load_dwordx2 s[2:3], s[4:5], 0x20
	s_load_dwordx4 s[8:11], s[4:5], 0x40
	s_waitcnt lgkmcnt(0)
	s_bitcmp1_b32 s17, 0
	s_cselect_b64 s[12:13], -1, 0
	s_xor_b64 s[0:1], s[12:13], -1
	s_and_b64 vcc, exec, s[12:13]
	v_pk_mov_b32 v[2:3], s[2:3], s[2:3] op_sel:[0,1]
	s_cbranch_vccnz .LBB14_2
; %bb.1:
	v_pk_mov_b32 v[2:3], s[2:3], s[2:3] op_sel:[0,1]
	flat_load_dwordx2 v[2:3], v[2:3]
.LBB14_2:
	s_andn2_b64 vcc, exec, s[0:1]
	v_pk_mov_b32 v[4:5], s[10:11], s[10:11] op_sel:[0,1]
	s_cbranch_vccnz .LBB14_4
; %bb.3:
	v_pk_mov_b32 v[4:5], s[10:11], s[10:11] op_sel:[0,1]
	flat_load_dwordx2 v[4:5], v[4:5]
.LBB14_4:
	s_waitcnt vmcnt(0) lgkmcnt(0)
	v_cmp_neq_f64_e32 vcc, 0, v[2:3]
	v_cmp_neq_f64_e64 s[0:1], 1.0, v[4:5]
	s_or_b64 s[0:1], vcc, s[0:1]
	s_and_saveexec_b64 s[2:3], s[0:1]
	s_cbranch_execz .LBB14_27
; %bb.5:
	s_load_dwordx2 s[10:11], s[4:5], 0x18
	v_lshl_or_b32 v6, s6, 9, v0
	s_waitcnt lgkmcnt(0)
	v_cmp_gt_i32_e32 vcc, s11, v6
	s_and_b64 exec, exec, vcc
	s_cbranch_execz .LBB14_27
; %bb.6:
	s_load_dwordx4 s[0:3], s[4:5], 0x58
	v_ashrrev_i32_e32 v7, 31, v6
	v_lshlrev_b64 v[8:9], 2, v[6:7]
	s_waitcnt lgkmcnt(0)
	v_mov_b32_e32 v1, s1
	v_add_co_u32_e32 v10, vcc, s0, v8
	v_addc_co_u32_e32 v11, vcc, v1, v9, vcc
	global_load_dword v10, v[10:11], off
	v_mov_b32_e32 v1, s3
	v_add_co_u32_e32 v8, vcc, s2, v8
	v_addc_co_u32_e32 v9, vcc, v1, v9, vcc
	global_load_dword v1, v[8:9], off
	s_load_dwordx4 s[0:3], s[4:5], 0x0
	s_load_dwordx2 s[6:7], s[4:5], 0x30
	s_waitcnt lgkmcnt(0)
	s_cmp_eq_u32 s2, 1
	s_cselect_b64 s[12:13], -1, 0
	s_cmpk_eq_i32 s0, 0x6f
	s_cselect_b64 s[14:15], -1, 0
	s_cmpk_lg_i32 s0, 0x6f
	s_cselect_b64 s[18:19], -1, 0
	s_cmp_lg_u32 s2, 1
	s_waitcnt vmcnt(1)
	v_subrev_u32_e32 v10, s16, v10
	v_ashrrev_i32_e32 v11, 31, v10
	s_cbranch_scc0 .LBB14_10
; %bb.7:
	s_andn2_b64 vcc, exec, s[14:15]
	v_pk_mov_b32 v[8:9], v[10:11], v[10:11] op_sel:[0,1]
	s_cbranch_vccnz .LBB14_9
; %bb.8:
	v_mul_lo_u32 v12, v11, s6
	v_mul_lo_u32 v13, v10, s7
	v_mad_u64_u32 v[8:9], s[20:21], v10, s6, 0
	v_add3_u32 v9, v9, v13, v12
.LBB14_9:
	s_cbranch_execz .LBB14_11
	s_branch .LBB14_14
.LBB14_10:
                                        ; implicit-def: $vgpr8_vgpr9
.LBB14_11:
	s_andn2_b64 vcc, exec, s[18:19]
	s_cbranch_vccnz .LBB14_13
; %bb.12:
	v_mul_lo_u32 v8, v11, s6
	v_mul_lo_u32 v9, v10, s7
	v_mad_u64_u32 v[10:11], s[18:19], v10, s6, 0
	v_add3_u32 v11, v11, v9, v8
.LBB14_13:
	v_pk_mov_b32 v[8:9], v[10:11], v[10:11] op_sel:[0,1]
.LBB14_14:
	s_cmp_eq_u32 s3, 1
	s_waitcnt vmcnt(0)
	v_subrev_u32_e32 v10, s16, v1
	s_cselect_b64 s[16:17], -1, 0
	s_cmpk_eq_i32 s1, 0x6f
	s_cselect_b64 s[18:19], -1, 0
	s_cmpk_lg_i32 s1, 0x6f
	s_cselect_b64 s[0:1], -1, 0
	s_cmp_lg_u32 s3, 1
	v_ashrrev_i32_e32 v11, 31, v10
	s_cbranch_scc0 .LBB14_21
; %bb.15:
	s_andn2_b64 vcc, exec, s[0:1]
	v_pk_mov_b32 v[12:13], v[10:11], v[10:11] op_sel:[0,1]
	s_cbranch_vccnz .LBB14_17
; %bb.16:
	v_mul_lo_u32 v1, v11, s8
	v_mul_lo_u32 v14, v10, s9
	v_mad_u64_u32 v[12:13], s[0:1], v10, s8, 0
	v_add3_u32 v13, v13, v14, v1
.LBB14_17:
	s_cbranch_execz .LBB14_22
; %bb.18:
	s_load_dwordx2 s[0:1], s[4:5], 0x50
	s_cmp_lt_i32 s10, 1
	s_cbranch_scc1 .LBB14_25
.LBB14_19:
	s_load_dwordx2 s[2:3], s[4:5], 0x38
	s_load_dwordx2 s[20:21], s[4:5], 0x28
	v_lshlrev_b64 v[10:11], 3, v[12:13]
	v_lshlrev_b64 v[8:9], 3, v[8:9]
	v_pk_mov_b32 v[12:13], 0, 0
	s_waitcnt lgkmcnt(0)
	v_mov_b32_e32 v1, s3
	v_add_co_u32_e32 v10, vcc, s2, v10
	s_xor_b64 s[2:3], s[14:15], s[12:13]
	s_and_b64 s[2:3], s[2:3], exec
	s_cselect_b32 s4, 1, s6
	s_xor_b64 s[2:3], s[18:19], s[16:17]
	s_and_b64 s[2:3], s[2:3], exec
	s_cselect_b32 s2, s8, 1
	v_addc_co_u32_e32 v11, vcc, v1, v11, vcc
	s_ashr_i32 s3, s2, 31
	s_ashr_i32 s5, s4, 31
	v_mov_b32_e32 v1, s21
	v_add_co_u32_e32 v8, vcc, s20, v8
	s_lshl_b64 s[2:3], s[2:3], 3
	s_lshl_b64 s[4:5], s[4:5], 3
	v_addc_co_u32_e32 v9, vcc, v1, v9, vcc
	v_mov_b32_e32 v1, s3
	v_mov_b32_e32 v14, s5
.LBB14_20:                              ; =>This Inner Loop Header: Depth=1
	global_load_dwordx2 v[16:17], v[8:9], off
	global_load_dwordx2 v[18:19], v[10:11], off
	v_add_co_u32_e32 v10, vcc, s2, v10
	v_addc_co_u32_e32 v11, vcc, v11, v1, vcc
	s_add_i32 s10, s10, -1
	v_add_co_u32_e32 v8, vcc, s4, v8
	v_addc_co_u32_e32 v9, vcc, v9, v14, vcc
	s_cmp_eq_u32 s10, 0
	s_waitcnt vmcnt(0)
	v_fmac_f64_e32 v[12:13], v[16:17], v[18:19]
	s_cbranch_scc0 .LBB14_20
	s_branch .LBB14_26
.LBB14_21:
                                        ; implicit-def: $vgpr12_vgpr13
.LBB14_22:
	s_andn2_b64 vcc, exec, s[18:19]
	s_cbranch_vccnz .LBB14_24
; %bb.23:
	v_mul_lo_u32 v1, v11, s8
	v_mul_lo_u32 v12, v10, s9
	v_mad_u64_u32 v[10:11], s[0:1], v10, s8, 0
	v_add3_u32 v11, v11, v12, v1
.LBB14_24:
	v_pk_mov_b32 v[12:13], v[10:11], v[10:11] op_sel:[0,1]
	s_load_dwordx2 s[0:1], s[4:5], 0x50
	s_cmp_lt_i32 s10, 1
	s_cbranch_scc0 .LBB14_19
.LBB14_25:
	v_pk_mov_b32 v[12:13], 0, 0
.LBB14_26:
	v_lshlrev_b32_e32 v8, 3, v0
	v_lshlrev_b64 v[0:1], 3, v[6:7]
	s_waitcnt lgkmcnt(0)
	v_mov_b32_e32 v6, s1
	v_add_co_u32_e32 v0, vcc, s0, v0
	v_addc_co_u32_e32 v1, vcc, v6, v1, vcc
	ds_write_b64 v8, v[12:13]
	s_waitcnt lgkmcnt(0)
	s_barrier
	global_load_dwordx2 v[6:7], v[0:1], off
	ds_read_b64 v[8:9], v8
	s_waitcnt lgkmcnt(0)
	v_mul_f64 v[2:3], v[2:3], v[8:9]
	s_waitcnt vmcnt(0)
	v_fmac_f64_e32 v[2:3], v[4:5], v[6:7]
	global_store_dwordx2 v[0:1], v[2:3], off
.LBB14_27:
	s_endpgm
	.section	.rodata,"a",@progbits
	.p2align	6, 0x0
	.amdhsa_kernel _ZN9rocsparseL17sddmm_coox_kernelILi512ELi1ELb0EdiidddEEv20rocsparse_operation_S1_16rocsparse_order_S2_T4_S3_S3_T3_NS_24const_host_device_scalarIT2_EEPKT5_lPKT6_lS7_PT7_PKS4_SH_21rocsparse_index_base_b
		.amdhsa_group_segment_fixed_size 4096
		.amdhsa_private_segment_fixed_size 0
		.amdhsa_kernarg_size 112
		.amdhsa_user_sgpr_count 6
		.amdhsa_user_sgpr_private_segment_buffer 1
		.amdhsa_user_sgpr_dispatch_ptr 0
		.amdhsa_user_sgpr_queue_ptr 0
		.amdhsa_user_sgpr_kernarg_segment_ptr 1
		.amdhsa_user_sgpr_dispatch_id 0
		.amdhsa_user_sgpr_flat_scratch_init 0
		.amdhsa_user_sgpr_kernarg_preload_length 0
		.amdhsa_user_sgpr_kernarg_preload_offset 0
		.amdhsa_user_sgpr_private_segment_size 0
		.amdhsa_uses_dynamic_stack 0
		.amdhsa_system_sgpr_private_segment_wavefront_offset 0
		.amdhsa_system_sgpr_workgroup_id_x 1
		.amdhsa_system_sgpr_workgroup_id_y 0
		.amdhsa_system_sgpr_workgroup_id_z 0
		.amdhsa_system_sgpr_workgroup_info 0
		.amdhsa_system_vgpr_workitem_id 0
		.amdhsa_next_free_vgpr 20
		.amdhsa_next_free_sgpr 22
		.amdhsa_accum_offset 20
		.amdhsa_reserve_vcc 1
		.amdhsa_reserve_flat_scratch 0
		.amdhsa_float_round_mode_32 0
		.amdhsa_float_round_mode_16_64 0
		.amdhsa_float_denorm_mode_32 3
		.amdhsa_float_denorm_mode_16_64 3
		.amdhsa_dx10_clamp 1
		.amdhsa_ieee_mode 1
		.amdhsa_fp16_overflow 0
		.amdhsa_tg_split 0
		.amdhsa_exception_fp_ieee_invalid_op 0
		.amdhsa_exception_fp_denorm_src 0
		.amdhsa_exception_fp_ieee_div_zero 0
		.amdhsa_exception_fp_ieee_overflow 0
		.amdhsa_exception_fp_ieee_underflow 0
		.amdhsa_exception_fp_ieee_inexact 0
		.amdhsa_exception_int_div_zero 0
	.end_amdhsa_kernel
	.section	.text._ZN9rocsparseL17sddmm_coox_kernelILi512ELi1ELb0EdiidddEEv20rocsparse_operation_S1_16rocsparse_order_S2_T4_S3_S3_T3_NS_24const_host_device_scalarIT2_EEPKT5_lPKT6_lS7_PT7_PKS4_SH_21rocsparse_index_base_b,"axG",@progbits,_ZN9rocsparseL17sddmm_coox_kernelILi512ELi1ELb0EdiidddEEv20rocsparse_operation_S1_16rocsparse_order_S2_T4_S3_S3_T3_NS_24const_host_device_scalarIT2_EEPKT5_lPKT6_lS7_PT7_PKS4_SH_21rocsparse_index_base_b,comdat
.Lfunc_end14:
	.size	_ZN9rocsparseL17sddmm_coox_kernelILi512ELi1ELb0EdiidddEEv20rocsparse_operation_S1_16rocsparse_order_S2_T4_S3_S3_T3_NS_24const_host_device_scalarIT2_EEPKT5_lPKT6_lS7_PT7_PKS4_SH_21rocsparse_index_base_b, .Lfunc_end14-_ZN9rocsparseL17sddmm_coox_kernelILi512ELi1ELb0EdiidddEEv20rocsparse_operation_S1_16rocsparse_order_S2_T4_S3_S3_T3_NS_24const_host_device_scalarIT2_EEPKT5_lPKT6_lS7_PT7_PKS4_SH_21rocsparse_index_base_b
                                        ; -- End function
	.section	.AMDGPU.csdata,"",@progbits
; Kernel info:
; codeLenInByte = 844
; NumSgprs: 26
; NumVgprs: 20
; NumAgprs: 0
; TotalNumVgprs: 20
; ScratchSize: 0
; MemoryBound: 0
; FloatMode: 240
; IeeeMode: 1
; LDSByteSize: 4096 bytes/workgroup (compile time only)
; SGPRBlocks: 3
; VGPRBlocks: 2
; NumSGPRsForWavesPerEU: 26
; NumVGPRsForWavesPerEU: 20
; AccumOffset: 20
; Occupancy: 8
; WaveLimiterHint : 1
; COMPUTE_PGM_RSRC2:SCRATCH_EN: 0
; COMPUTE_PGM_RSRC2:USER_SGPR: 6
; COMPUTE_PGM_RSRC2:TRAP_HANDLER: 0
; COMPUTE_PGM_RSRC2:TGID_X_EN: 1
; COMPUTE_PGM_RSRC2:TGID_Y_EN: 0
; COMPUTE_PGM_RSRC2:TGID_Z_EN: 0
; COMPUTE_PGM_RSRC2:TIDIG_COMP_CNT: 0
; COMPUTE_PGM_RSRC3_GFX90A:ACCUM_OFFSET: 4
; COMPUTE_PGM_RSRC3_GFX90A:TG_SPLIT: 0
	.section	.text._ZN9rocsparseL24sddmm_coox_sample_kernelILi512ELb0E21rocsparse_complex_numIfEiiS2_EEvT3_S3_T2_PKT4_S3_PS5_PKS4_SA_21rocsparse_index_base_,"axG",@progbits,_ZN9rocsparseL24sddmm_coox_sample_kernelILi512ELb0E21rocsparse_complex_numIfEiiS2_EEvT3_S3_T2_PKT4_S3_PS5_PKS4_SA_21rocsparse_index_base_,comdat
	.globl	_ZN9rocsparseL24sddmm_coox_sample_kernelILi512ELb0E21rocsparse_complex_numIfEiiS2_EEvT3_S3_T2_PKT4_S3_PS5_PKS4_SA_21rocsparse_index_base_ ; -- Begin function _ZN9rocsparseL24sddmm_coox_sample_kernelILi512ELb0E21rocsparse_complex_numIfEiiS2_EEvT3_S3_T2_PKT4_S3_PS5_PKS4_SA_21rocsparse_index_base_
	.p2align	8
	.type	_ZN9rocsparseL24sddmm_coox_sample_kernelILi512ELb0E21rocsparse_complex_numIfEiiS2_EEvT3_S3_T2_PKT4_S3_PS5_PKS4_SA_21rocsparse_index_base_,@function
_ZN9rocsparseL24sddmm_coox_sample_kernelILi512ELb0E21rocsparse_complex_numIfEiiS2_EEvT3_S3_T2_PKT4_S3_PS5_PKS4_SA_21rocsparse_index_base_: ; @_ZN9rocsparseL24sddmm_coox_sample_kernelILi512ELb0E21rocsparse_complex_numIfEiiS2_EEvT3_S3_T2_PKT4_S3_PS5_PKS4_SA_21rocsparse_index_base_
; %bb.0:
	s_load_dword s10, s[4:5], 0x8
	v_lshl_or_b32 v0, s6, 9, v0
	s_waitcnt lgkmcnt(0)
	v_cmp_gt_u32_e32 vcc, s10, v0
	s_and_saveexec_b64 s[0:1], vcc
	s_cbranch_execz .LBB15_3
; %bb.1:
	s_load_dword s11, s[4:5], 0x38
	s_load_dword s13, s[4:5], 0x40
	s_load_dwordx4 s[0:3], s[4:5], 0x20
	s_load_dwordx2 s[6:7], s[4:5], 0x30
	s_load_dwordx2 s[8:9], s[4:5], 0x10
	s_load_dword s12, s[4:5], 0x18
	s_waitcnt lgkmcnt(0)
	s_lshl_b32 s13, s13, 9
	s_mov_b64 s[4:5], 0
	v_mov_b32_e32 v1, 0
	v_mov_b32_e32 v2, s3
	;; [unrolled: 1-line block ×5, first 2 shown]
.LBB15_2:                               ; =>This Inner Loop Header: Depth=1
	v_lshlrev_b64 v[6:7], 2, v[0:1]
	v_add_co_u32_e32 v8, vcc, s2, v6
	v_addc_co_u32_e32 v9, vcc, v2, v7, vcc
	v_add_co_u32_e32 v6, vcc, s6, v6
	v_addc_co_u32_e32 v7, vcc, v3, v7, vcc
	global_load_dword v10, v[8:9], off
	global_load_dword v11, v[6:7], off
	v_lshlrev_b64 v[8:9], 3, v[0:1]
	v_add_u32_e32 v0, s13, v0
	s_waitcnt vmcnt(1)
	v_subrev_u32_e32 v6, s11, v10
	s_waitcnt vmcnt(0)
	v_subrev_u32_e32 v7, s11, v11
	v_mad_u64_u32 v[6:7], s[14:15], v7, s12, v[6:7]
	v_ashrrev_i32_e32 v7, 31, v6
	v_lshlrev_b64 v[6:7], 3, v[6:7]
	v_add_co_u32_e32 v6, vcc, s8, v6
	v_addc_co_u32_e32 v7, vcc, v4, v7, vcc
	global_load_dwordx2 v[6:7], v[6:7], off
	v_add_co_u32_e32 v8, vcc, s0, v8
	v_addc_co_u32_e32 v9, vcc, v5, v9, vcc
	v_cmp_le_u32_e32 vcc, s10, v0
	s_or_b64 s[4:5], vcc, s[4:5]
	s_waitcnt vmcnt(0)
	global_store_dwordx2 v[8:9], v[6:7], off
	s_andn2_b64 exec, exec, s[4:5]
	s_cbranch_execnz .LBB15_2
.LBB15_3:
	s_endpgm
	.section	.rodata,"a",@progbits
	.p2align	6, 0x0
	.amdhsa_kernel _ZN9rocsparseL24sddmm_coox_sample_kernelILi512ELb0E21rocsparse_complex_numIfEiiS2_EEvT3_S3_T2_PKT4_S3_PS5_PKS4_SA_21rocsparse_index_base_
		.amdhsa_group_segment_fixed_size 0
		.amdhsa_private_segment_fixed_size 0
		.amdhsa_kernarg_size 320
		.amdhsa_user_sgpr_count 6
		.amdhsa_user_sgpr_private_segment_buffer 1
		.amdhsa_user_sgpr_dispatch_ptr 0
		.amdhsa_user_sgpr_queue_ptr 0
		.amdhsa_user_sgpr_kernarg_segment_ptr 1
		.amdhsa_user_sgpr_dispatch_id 0
		.amdhsa_user_sgpr_flat_scratch_init 0
		.amdhsa_user_sgpr_kernarg_preload_length 0
		.amdhsa_user_sgpr_kernarg_preload_offset 0
		.amdhsa_user_sgpr_private_segment_size 0
		.amdhsa_uses_dynamic_stack 0
		.amdhsa_system_sgpr_private_segment_wavefront_offset 0
		.amdhsa_system_sgpr_workgroup_id_x 1
		.amdhsa_system_sgpr_workgroup_id_y 0
		.amdhsa_system_sgpr_workgroup_id_z 0
		.amdhsa_system_sgpr_workgroup_info 0
		.amdhsa_system_vgpr_workitem_id 0
		.amdhsa_next_free_vgpr 12
		.amdhsa_next_free_sgpr 16
		.amdhsa_accum_offset 12
		.amdhsa_reserve_vcc 1
		.amdhsa_reserve_flat_scratch 0
		.amdhsa_float_round_mode_32 0
		.amdhsa_float_round_mode_16_64 0
		.amdhsa_float_denorm_mode_32 3
		.amdhsa_float_denorm_mode_16_64 3
		.amdhsa_dx10_clamp 1
		.amdhsa_ieee_mode 1
		.amdhsa_fp16_overflow 0
		.amdhsa_tg_split 0
		.amdhsa_exception_fp_ieee_invalid_op 0
		.amdhsa_exception_fp_denorm_src 0
		.amdhsa_exception_fp_ieee_div_zero 0
		.amdhsa_exception_fp_ieee_overflow 0
		.amdhsa_exception_fp_ieee_underflow 0
		.amdhsa_exception_fp_ieee_inexact 0
		.amdhsa_exception_int_div_zero 0
	.end_amdhsa_kernel
	.section	.text._ZN9rocsparseL24sddmm_coox_sample_kernelILi512ELb0E21rocsparse_complex_numIfEiiS2_EEvT3_S3_T2_PKT4_S3_PS5_PKS4_SA_21rocsparse_index_base_,"axG",@progbits,_ZN9rocsparseL24sddmm_coox_sample_kernelILi512ELb0E21rocsparse_complex_numIfEiiS2_EEvT3_S3_T2_PKT4_S3_PS5_PKS4_SA_21rocsparse_index_base_,comdat
.Lfunc_end15:
	.size	_ZN9rocsparseL24sddmm_coox_sample_kernelILi512ELb0E21rocsparse_complex_numIfEiiS2_EEvT3_S3_T2_PKT4_S3_PS5_PKS4_SA_21rocsparse_index_base_, .Lfunc_end15-_ZN9rocsparseL24sddmm_coox_sample_kernelILi512ELb0E21rocsparse_complex_numIfEiiS2_EEvT3_S3_T2_PKT4_S3_PS5_PKS4_SA_21rocsparse_index_base_
                                        ; -- End function
	.section	.AMDGPU.csdata,"",@progbits
; Kernel info:
; codeLenInByte = 256
; NumSgprs: 20
; NumVgprs: 12
; NumAgprs: 0
; TotalNumVgprs: 12
; ScratchSize: 0
; MemoryBound: 0
; FloatMode: 240
; IeeeMode: 1
; LDSByteSize: 0 bytes/workgroup (compile time only)
; SGPRBlocks: 2
; VGPRBlocks: 1
; NumSGPRsForWavesPerEU: 20
; NumVGPRsForWavesPerEU: 12
; AccumOffset: 12
; Occupancy: 8
; WaveLimiterHint : 1
; COMPUTE_PGM_RSRC2:SCRATCH_EN: 0
; COMPUTE_PGM_RSRC2:USER_SGPR: 6
; COMPUTE_PGM_RSRC2:TRAP_HANDLER: 0
; COMPUTE_PGM_RSRC2:TGID_X_EN: 1
; COMPUTE_PGM_RSRC2:TGID_Y_EN: 0
; COMPUTE_PGM_RSRC2:TGID_Z_EN: 0
; COMPUTE_PGM_RSRC2:TIDIG_COMP_CNT: 0
; COMPUTE_PGM_RSRC3_GFX90A:ACCUM_OFFSET: 2
; COMPUTE_PGM_RSRC3_GFX90A:TG_SPLIT: 0
	.section	.text._ZN9rocsparseL17sddmm_coox_kernelILi512ELi8ELb0E21rocsparse_complex_numIfEiiS2_S2_S2_EEv20rocsparse_operation_S3_16rocsparse_order_S4_T4_S5_S5_T3_NS_24const_host_device_scalarIT2_EEPKT5_lPKT6_lS9_PT7_PKS6_SJ_21rocsparse_index_base_b,"axG",@progbits,_ZN9rocsparseL17sddmm_coox_kernelILi512ELi8ELb0E21rocsparse_complex_numIfEiiS2_S2_S2_EEv20rocsparse_operation_S3_16rocsparse_order_S4_T4_S5_S5_T3_NS_24const_host_device_scalarIT2_EEPKT5_lPKT6_lS9_PT7_PKS6_SJ_21rocsparse_index_base_b,comdat
	.globl	_ZN9rocsparseL17sddmm_coox_kernelILi512ELi8ELb0E21rocsparse_complex_numIfEiiS2_S2_S2_EEv20rocsparse_operation_S3_16rocsparse_order_S4_T4_S5_S5_T3_NS_24const_host_device_scalarIT2_EEPKT5_lPKT6_lS9_PT7_PKS6_SJ_21rocsparse_index_base_b ; -- Begin function _ZN9rocsparseL17sddmm_coox_kernelILi512ELi8ELb0E21rocsparse_complex_numIfEiiS2_S2_S2_EEv20rocsparse_operation_S3_16rocsparse_order_S4_T4_S5_S5_T3_NS_24const_host_device_scalarIT2_EEPKT5_lPKT6_lS9_PT7_PKS6_SJ_21rocsparse_index_base_b
	.p2align	8
	.type	_ZN9rocsparseL17sddmm_coox_kernelILi512ELi8ELb0E21rocsparse_complex_numIfEiiS2_S2_S2_EEv20rocsparse_operation_S3_16rocsparse_order_S4_T4_S5_S5_T3_NS_24const_host_device_scalarIT2_EEPKT5_lPKT6_lS9_PT7_PKS6_SJ_21rocsparse_index_base_b,@function
_ZN9rocsparseL17sddmm_coox_kernelILi512ELi8ELb0E21rocsparse_complex_numIfEiiS2_S2_S2_EEv20rocsparse_operation_S3_16rocsparse_order_S4_T4_S5_S5_T3_NS_24const_host_device_scalarIT2_EEPKT5_lPKT6_lS9_PT7_PKS6_SJ_21rocsparse_index_base_b: ; @_ZN9rocsparseL17sddmm_coox_kernelILi512ELi8ELb0E21rocsparse_complex_numIfEiiS2_S2_S2_EEv20rocsparse_operation_S3_16rocsparse_order_S4_T4_S5_S5_T3_NS_24const_host_device_scalarIT2_EEPKT5_lPKT6_lS9_PT7_PKS6_SJ_21rocsparse_index_base_b
; %bb.0:
	s_load_dwordx2 s[12:13], s[4:5], 0x68
	s_load_dwordx2 s[2:3], s[4:5], 0x20
	s_waitcnt lgkmcnt(0)
	s_bitcmp1_b32 s13, 0
	s_cselect_b64 s[0:1], -1, 0
	s_xor_b64 s[14:15], s[0:1], -1
	s_and_b64 vcc, exec, s[0:1]
	v_mov_b32_e32 v1, s2
	s_cbranch_vccnz .LBB16_2
; %bb.1:
	v_pk_mov_b32 v[2:3], s[2:3], s[2:3] op_sel:[0,1]
	flat_load_dword v1, v[2:3]
.LBB16_2:
	s_load_dwordx4 s[8:11], s[4:5], 0x40
	v_cndmask_b32_e64 v2, 0, 1, s[14:15]
	v_cmp_ne_u32_e64 s[0:1], 1, v2
	s_andn2_b64 vcc, exec, s[14:15]
	v_mov_b32_e32 v3, s3
	s_cbranch_vccz .LBB16_14
; %bb.3:
	s_and_b64 vcc, exec, s[0:1]
	s_waitcnt lgkmcnt(0)
	v_mov_b32_e32 v4, s10
	s_cbranch_vccz .LBB16_15
.LBB16_4:
	s_and_b64 vcc, exec, s[0:1]
	v_mov_b32_e32 v6, s11
	s_cbranch_vccnz .LBB16_6
.LBB16_5:
	v_pk_mov_b32 v[6:7], s[10:11], s[10:11] op_sel:[0,1]
	flat_load_dword v6, v[6:7] offset:4
.LBB16_6:
	s_waitcnt vmcnt(0)
	v_or_b32_e32 v2, v1, v3
	v_and_b32_e32 v2, 0x7fffffff, v2
	v_cmp_eq_u32_e32 vcc, 0, v2
	s_mov_b64 s[0:1], -1
	s_and_saveexec_b64 s[2:3], vcc
	s_cbranch_execz .LBB16_8
; %bb.7:
	s_waitcnt lgkmcnt(0)
	v_cmp_neq_f32_e32 vcc, 1.0, v4
	v_cmp_neq_f32_e64 s[0:1], 0, v6
	s_or_b64 s[0:1], vcc, s[0:1]
	s_orn2_b64 s[0:1], s[0:1], exec
.LBB16_8:
	s_or_b64 exec, exec, s[2:3]
	s_and_saveexec_b64 s[2:3], s[0:1]
	s_cbranch_execz .LBB16_40
; %bb.9:
	s_load_dwordx2 s[10:11], s[4:5], 0x18
	v_lshrrev_b32_e32 v2, 3, v0
	v_lshl_or_b32 v8, s6, 6, v2
	s_waitcnt lgkmcnt(0)
	v_cmp_gt_i32_e32 vcc, s11, v8
	s_and_b64 exec, exec, vcc
	s_cbranch_execz .LBB16_40
; %bb.10:
	s_load_dwordx4 s[0:3], s[4:5], 0x58
	v_ashrrev_i32_e32 v9, 31, v8
	v_lshlrev_b64 v[10:11], 2, v[8:9]
	s_waitcnt lgkmcnt(0)
	v_mov_b32_e32 v5, s1
	v_add_co_u32_e32 v12, vcc, s0, v10
	v_addc_co_u32_e32 v13, vcc, v5, v11, vcc
	global_load_dword v7, v[12:13], off
	v_mov_b32_e32 v5, s3
	v_add_co_u32_e32 v10, vcc, s2, v10
	v_addc_co_u32_e32 v11, vcc, v5, v11, vcc
	global_load_dword v5, v[10:11], off
	s_load_dwordx4 s[0:3], s[4:5], 0x0
	s_load_dwordx2 s[6:7], s[4:5], 0x30
	s_waitcnt lgkmcnt(0)
	s_cmp_eq_u32 s2, 1
	s_cselect_b64 s[14:15], -1, 0
	s_cmpk_eq_i32 s0, 0x6f
	s_cselect_b64 s[16:17], -1, 0
	s_cmpk_lg_i32 s0, 0x6f
	s_cselect_b64 s[18:19], -1, 0
	s_cmp_lg_u32 s2, 1
	s_waitcnt vmcnt(1)
	v_subrev_u32_e32 v12, s12, v7
	v_ashrrev_i32_e32 v13, 31, v12
	s_cbranch_scc0 .LBB16_16
; %bb.11:
	s_andn2_b64 vcc, exec, s[16:17]
	v_pk_mov_b32 v[10:11], v[12:13], v[12:13] op_sel:[0,1]
	s_cbranch_vccnz .LBB16_13
; %bb.12:
	v_mul_lo_u32 v7, v13, s6
	v_mul_lo_u32 v14, v12, s7
	v_mad_u64_u32 v[10:11], s[20:21], v12, s6, 0
	v_add3_u32 v11, v11, v14, v7
.LBB16_13:
	s_cbranch_execz .LBB16_17
	s_branch .LBB16_20
.LBB16_14:
	v_pk_mov_b32 v[2:3], s[2:3], s[2:3] op_sel:[0,1]
	flat_load_dword v3, v[2:3] offset:4
	s_and_b64 vcc, exec, s[0:1]
	s_waitcnt lgkmcnt(0)
	v_mov_b32_e32 v4, s10
	s_cbranch_vccnz .LBB16_4
.LBB16_15:
	v_pk_mov_b32 v[4:5], s[10:11], s[10:11] op_sel:[0,1]
	flat_load_dword v4, v[4:5]
	s_and_b64 vcc, exec, s[0:1]
	v_mov_b32_e32 v6, s11
	s_cbranch_vccz .LBB16_5
	s_branch .LBB16_6
.LBB16_16:
                                        ; implicit-def: $vgpr10_vgpr11
.LBB16_17:
	s_andn2_b64 vcc, exec, s[18:19]
	s_cbranch_vccnz .LBB16_19
; %bb.18:
	v_mul_lo_u32 v7, v13, s6
	v_mul_lo_u32 v10, v12, s7
	v_mad_u64_u32 v[12:13], s[18:19], v12, s6, 0
	v_add3_u32 v13, v13, v10, v7
.LBB16_19:
	v_pk_mov_b32 v[10:11], v[12:13], v[12:13] op_sel:[0,1]
.LBB16_20:
	s_cmp_eq_u32 s3, 1
	s_waitcnt vmcnt(0)
	v_subrev_u32_e32 v12, s12, v5
	s_cselect_b64 s[12:13], -1, 0
	s_cmpk_eq_i32 s1, 0x6f
	s_cselect_b64 s[18:19], -1, 0
	s_cmpk_lg_i32 s1, 0x6f
	s_cselect_b64 s[0:1], -1, 0
	s_cmp_lg_u32 s3, 1
	v_ashrrev_i32_e32 v13, 31, v12
	s_cbranch_scc0 .LBB16_24
; %bb.21:
	s_andn2_b64 vcc, exec, s[0:1]
	v_pk_mov_b32 v[14:15], v[12:13], v[12:13] op_sel:[0,1]
	s_cbranch_vccnz .LBB16_23
; %bb.22:
	v_mul_lo_u32 v5, v13, s8
	v_mul_lo_u32 v7, v12, s9
	v_mad_u64_u32 v[14:15], s[0:1], v12, s8, 0
	v_add3_u32 v15, v15, v7, v5
.LBB16_23:
	s_cbranch_execz .LBB16_25
	s_branch .LBB16_28
.LBB16_24:
                                        ; implicit-def: $vgpr14_vgpr15
.LBB16_25:
	s_andn2_b64 vcc, exec, s[18:19]
	s_cbranch_vccnz .LBB16_27
; %bb.26:
	v_mul_lo_u32 v5, v13, s8
	v_mul_lo_u32 v7, v12, s9
	v_mad_u64_u32 v[12:13], s[0:1], v12, s8, 0
	v_add3_u32 v13, v13, v7, v5
.LBB16_27:
	v_pk_mov_b32 v[14:15], v[12:13], v[12:13] op_sel:[0,1]
.LBB16_28:
	s_load_dwordx2 s[0:1], s[4:5], 0x50
	v_and_b32_e32 v0, 7, v0
	v_mov_b32_e32 v13, 0
	v_cmp_gt_i32_e32 vcc, s10, v0
	v_mov_b32_e32 v12, v13
	s_and_saveexec_b64 s[2:3], vcc
	s_cbranch_execz .LBB16_32
; %bb.29:
	s_load_dwordx2 s[20:21], s[4:5], 0x38
	s_load_dwordx2 s[22:23], s[4:5], 0x28
	v_lshlrev_b64 v[12:13], 3, v[14:15]
	s_xor_b64 s[4:5], s[16:17], s[14:15]
	s_and_b64 s[4:5], s[4:5], exec
	s_waitcnt lgkmcnt(0)
	v_mov_b32_e32 v7, s21
	v_add_co_u32_e32 v5, vcc, s20, v12
	v_addc_co_u32_e32 v7, vcc, v7, v13, vcc
	v_lshlrev_b64 v[10:11], 3, v[10:11]
	s_cselect_b32 s7, 1, s6
	s_xor_b64 s[4:5], s[18:19], s[12:13]
	v_mov_b32_e32 v12, s23
	v_add_co_u32_e32 v16, vcc, s22, v10
	s_and_b64 s[4:5], s[4:5], exec
	v_addc_co_u32_e32 v17, vcc, v12, v11, vcc
	s_cselect_b32 s4, s8, 1
	v_mov_b32_e32 v12, 0
	v_mul_lo_u32 v10, s4, v0
	s_lshl_b32 s6, s4, 3
	v_mul_lo_u32 v14, s7, v0
	s_lshl_b32 s7, s7, 3
	s_mov_b64 s[4:5], 0
	v_mov_b32_e32 v18, v0
	v_mov_b32_e32 v13, v12
.LBB16_30:                              ; =>This Inner Loop Header: Depth=1
	v_ashrrev_i32_e32 v15, 31, v14
	v_lshlrev_b64 v[20:21], 3, v[14:15]
	v_add_co_u32_e32 v20, vcc, v16, v20
	v_ashrrev_i32_e32 v11, 31, v10
	v_addc_co_u32_e32 v21, vcc, v17, v21, vcc
	v_lshlrev_b64 v[22:23], 3, v[10:11]
	v_add_co_u32_e32 v22, vcc, v5, v22
	v_addc_co_u32_e32 v23, vcc, v7, v23, vcc
	global_load_dwordx2 v[24:25], v[20:21], off
	global_load_dwordx2 v[26:27], v[22:23], off
	v_add_u32_e32 v18, 8, v18
	v_cmp_le_i32_e32 vcc, s10, v18
	v_add_u32_e32 v10, s6, v10
	s_or_b64 s[4:5], vcc, s[4:5]
	v_add_u32_e32 v14, s7, v14
	s_waitcnt vmcnt(0)
	v_pk_mul_f32 v[20:21], v[26:27], v[24:25] op_sel:[1,1] op_sel_hi:[1,0] neg_lo:[0,1]
	v_pk_fma_f32 v[20:21], v[24:25], v[26:27], v[20:21] op_sel_hi:[1,0,1]
	v_pk_add_f32 v[12:13], v[12:13], v[20:21]
	s_andn2_b64 exec, exec, s[4:5]
	s_cbranch_execnz .LBB16_30
; %bb.31:
	s_or_b64 exec, exec, s[4:5]
.LBB16_32:
	s_or_b64 exec, exec, s[2:3]
	v_lshlrev_b32_e32 v5, 3, v0
	v_lshl_or_b32 v5, v2, 6, v5
	v_cmp_gt_u32_e32 vcc, 4, v0
	ds_write_b64 v5, v[12:13]
	s_waitcnt lgkmcnt(0)
	s_barrier
	s_and_saveexec_b64 s[2:3], vcc
	s_cbranch_execz .LBB16_34
; %bb.33:
	ds_read2_b64 v[10:13], v5 offset1:4
	s_waitcnt lgkmcnt(0)
	v_pk_add_f32 v[10:11], v[12:13], v[10:11]
	ds_write_b64 v5, v[10:11]
.LBB16_34:
	s_or_b64 exec, exec, s[2:3]
	v_cmp_gt_u32_e32 vcc, 2, v0
	s_waitcnt lgkmcnt(0)
	s_barrier
	s_and_saveexec_b64 s[2:3], vcc
	s_cbranch_execz .LBB16_36
; %bb.35:
	ds_read2_b64 v[10:13], v5 offset1:2
	s_waitcnt lgkmcnt(0)
	v_pk_add_f32 v[10:11], v[12:13], v[10:11]
	ds_write_b64 v5, v[10:11]
.LBB16_36:
	s_or_b64 exec, exec, s[2:3]
	v_cmp_eq_u32_e32 vcc, 0, v0
	v_lshlrev_b32_e32 v0, 6, v2
	s_waitcnt lgkmcnt(0)
	s_barrier
	s_and_saveexec_b64 s[2:3], vcc
	s_cbranch_execz .LBB16_38
; %bb.37:
	ds_read_b64 v[10:11], v0 offset:8
	ds_read_b64 v[12:13], v5
	s_waitcnt lgkmcnt(0)
	v_pk_add_f32 v[10:11], v[10:11], v[12:13]
	ds_write_b64 v5, v[10:11]
.LBB16_38:
	s_or_b64 exec, exec, s[2:3]
	s_waitcnt lgkmcnt(0)
	s_barrier
	s_and_b64 exec, exec, vcc
	s_cbranch_execz .LBB16_40
; %bb.39:
	v_lshlrev_b64 v[8:9], 3, v[8:9]
	v_mov_b32_e32 v2, s1
	v_add_co_u32_e32 v8, vcc, s0, v8
	v_addc_co_u32_e32 v9, vcc, v2, v9, vcc
	global_load_dwordx2 v[10:11], v[8:9], off
	ds_read_b64 v[12:13], v0
	v_xor_b32_e32 v15, 0x80000000, v3
	s_waitcnt lgkmcnt(0)
	v_mov_b32_e32 v7, v13
	v_mov_b32_e32 v5, v12
	s_waitcnt vmcnt(0)
	v_mov_b32_e32 v14, v10
	v_mov_b32_e32 v0, v11
	v_pk_mul_f32 v[12:13], v[6:7], v[14:15]
	v_pk_fma_f32 v[12:13], v[0:1], v[4:5], v[12:13]
	v_xor_b32_e32 v0, 0x80000000, v11
	v_mov_b32_e32 v2, v10
	v_pk_mul_f32 v[0:1], v[6:7], v[0:1]
	v_pk_fma_f32 v[0:1], v[2:3], v[4:5], v[0:1]
	v_pk_add_f32 v[0:1], v[12:13], v[0:1] op_sel:[0,1] op_sel_hi:[1,0]
	v_mov_b32_e32 v2, v1
	v_mov_b32_e32 v3, v0
	global_store_dwordx2 v[8:9], v[2:3], off
.LBB16_40:
	s_endpgm
	.section	.rodata,"a",@progbits
	.p2align	6, 0x0
	.amdhsa_kernel _ZN9rocsparseL17sddmm_coox_kernelILi512ELi8ELb0E21rocsparse_complex_numIfEiiS2_S2_S2_EEv20rocsparse_operation_S3_16rocsparse_order_S4_T4_S5_S5_T3_NS_24const_host_device_scalarIT2_EEPKT5_lPKT6_lS9_PT7_PKS6_SJ_21rocsparse_index_base_b
		.amdhsa_group_segment_fixed_size 4096
		.amdhsa_private_segment_fixed_size 0
		.amdhsa_kernarg_size 112
		.amdhsa_user_sgpr_count 6
		.amdhsa_user_sgpr_private_segment_buffer 1
		.amdhsa_user_sgpr_dispatch_ptr 0
		.amdhsa_user_sgpr_queue_ptr 0
		.amdhsa_user_sgpr_kernarg_segment_ptr 1
		.amdhsa_user_sgpr_dispatch_id 0
		.amdhsa_user_sgpr_flat_scratch_init 0
		.amdhsa_user_sgpr_kernarg_preload_length 0
		.amdhsa_user_sgpr_kernarg_preload_offset 0
		.amdhsa_user_sgpr_private_segment_size 0
		.amdhsa_uses_dynamic_stack 0
		.amdhsa_system_sgpr_private_segment_wavefront_offset 0
		.amdhsa_system_sgpr_workgroup_id_x 1
		.amdhsa_system_sgpr_workgroup_id_y 0
		.amdhsa_system_sgpr_workgroup_id_z 0
		.amdhsa_system_sgpr_workgroup_info 0
		.amdhsa_system_vgpr_workitem_id 0
		.amdhsa_next_free_vgpr 28
		.amdhsa_next_free_sgpr 24
		.amdhsa_accum_offset 28
		.amdhsa_reserve_vcc 1
		.amdhsa_reserve_flat_scratch 0
		.amdhsa_float_round_mode_32 0
		.amdhsa_float_round_mode_16_64 0
		.amdhsa_float_denorm_mode_32 3
		.amdhsa_float_denorm_mode_16_64 3
		.amdhsa_dx10_clamp 1
		.amdhsa_ieee_mode 1
		.amdhsa_fp16_overflow 0
		.amdhsa_tg_split 0
		.amdhsa_exception_fp_ieee_invalid_op 0
		.amdhsa_exception_fp_denorm_src 0
		.amdhsa_exception_fp_ieee_div_zero 0
		.amdhsa_exception_fp_ieee_overflow 0
		.amdhsa_exception_fp_ieee_underflow 0
		.amdhsa_exception_fp_ieee_inexact 0
		.amdhsa_exception_int_div_zero 0
	.end_amdhsa_kernel
	.section	.text._ZN9rocsparseL17sddmm_coox_kernelILi512ELi8ELb0E21rocsparse_complex_numIfEiiS2_S2_S2_EEv20rocsparse_operation_S3_16rocsparse_order_S4_T4_S5_S5_T3_NS_24const_host_device_scalarIT2_EEPKT5_lPKT6_lS9_PT7_PKS6_SJ_21rocsparse_index_base_b,"axG",@progbits,_ZN9rocsparseL17sddmm_coox_kernelILi512ELi8ELb0E21rocsparse_complex_numIfEiiS2_S2_S2_EEv20rocsparse_operation_S3_16rocsparse_order_S4_T4_S5_S5_T3_NS_24const_host_device_scalarIT2_EEPKT5_lPKT6_lS9_PT7_PKS6_SJ_21rocsparse_index_base_b,comdat
.Lfunc_end16:
	.size	_ZN9rocsparseL17sddmm_coox_kernelILi512ELi8ELb0E21rocsparse_complex_numIfEiiS2_S2_S2_EEv20rocsparse_operation_S3_16rocsparse_order_S4_T4_S5_S5_T3_NS_24const_host_device_scalarIT2_EEPKT5_lPKT6_lS9_PT7_PKS6_SJ_21rocsparse_index_base_b, .Lfunc_end16-_ZN9rocsparseL17sddmm_coox_kernelILi512ELi8ELb0E21rocsparse_complex_numIfEiiS2_S2_S2_EEv20rocsparse_operation_S3_16rocsparse_order_S4_T4_S5_S5_T3_NS_24const_host_device_scalarIT2_EEPKT5_lPKT6_lS9_PT7_PKS6_SJ_21rocsparse_index_base_b
                                        ; -- End function
	.section	.AMDGPU.csdata,"",@progbits
; Kernel info:
; codeLenInByte = 1308
; NumSgprs: 28
; NumVgprs: 28
; NumAgprs: 0
; TotalNumVgprs: 28
; ScratchSize: 0
; MemoryBound: 0
; FloatMode: 240
; IeeeMode: 1
; LDSByteSize: 4096 bytes/workgroup (compile time only)
; SGPRBlocks: 3
; VGPRBlocks: 3
; NumSGPRsForWavesPerEU: 28
; NumVGPRsForWavesPerEU: 28
; AccumOffset: 28
; Occupancy: 8
; WaveLimiterHint : 1
; COMPUTE_PGM_RSRC2:SCRATCH_EN: 0
; COMPUTE_PGM_RSRC2:USER_SGPR: 6
; COMPUTE_PGM_RSRC2:TRAP_HANDLER: 0
; COMPUTE_PGM_RSRC2:TGID_X_EN: 1
; COMPUTE_PGM_RSRC2:TGID_Y_EN: 0
; COMPUTE_PGM_RSRC2:TGID_Z_EN: 0
; COMPUTE_PGM_RSRC2:TIDIG_COMP_CNT: 0
; COMPUTE_PGM_RSRC3_GFX90A:ACCUM_OFFSET: 6
; COMPUTE_PGM_RSRC3_GFX90A:TG_SPLIT: 0
	.section	.text._ZN9rocsparseL17sddmm_coox_kernelILi512ELi4ELb0E21rocsparse_complex_numIfEiiS2_S2_S2_EEv20rocsparse_operation_S3_16rocsparse_order_S4_T4_S5_S5_T3_NS_24const_host_device_scalarIT2_EEPKT5_lPKT6_lS9_PT7_PKS6_SJ_21rocsparse_index_base_b,"axG",@progbits,_ZN9rocsparseL17sddmm_coox_kernelILi512ELi4ELb0E21rocsparse_complex_numIfEiiS2_S2_S2_EEv20rocsparse_operation_S3_16rocsparse_order_S4_T4_S5_S5_T3_NS_24const_host_device_scalarIT2_EEPKT5_lPKT6_lS9_PT7_PKS6_SJ_21rocsparse_index_base_b,comdat
	.globl	_ZN9rocsparseL17sddmm_coox_kernelILi512ELi4ELb0E21rocsparse_complex_numIfEiiS2_S2_S2_EEv20rocsparse_operation_S3_16rocsparse_order_S4_T4_S5_S5_T3_NS_24const_host_device_scalarIT2_EEPKT5_lPKT6_lS9_PT7_PKS6_SJ_21rocsparse_index_base_b ; -- Begin function _ZN9rocsparseL17sddmm_coox_kernelILi512ELi4ELb0E21rocsparse_complex_numIfEiiS2_S2_S2_EEv20rocsparse_operation_S3_16rocsparse_order_S4_T4_S5_S5_T3_NS_24const_host_device_scalarIT2_EEPKT5_lPKT6_lS9_PT7_PKS6_SJ_21rocsparse_index_base_b
	.p2align	8
	.type	_ZN9rocsparseL17sddmm_coox_kernelILi512ELi4ELb0E21rocsparse_complex_numIfEiiS2_S2_S2_EEv20rocsparse_operation_S3_16rocsparse_order_S4_T4_S5_S5_T3_NS_24const_host_device_scalarIT2_EEPKT5_lPKT6_lS9_PT7_PKS6_SJ_21rocsparse_index_base_b,@function
_ZN9rocsparseL17sddmm_coox_kernelILi512ELi4ELb0E21rocsparse_complex_numIfEiiS2_S2_S2_EEv20rocsparse_operation_S3_16rocsparse_order_S4_T4_S5_S5_T3_NS_24const_host_device_scalarIT2_EEPKT5_lPKT6_lS9_PT7_PKS6_SJ_21rocsparse_index_base_b: ; @_ZN9rocsparseL17sddmm_coox_kernelILi512ELi4ELb0E21rocsparse_complex_numIfEiiS2_S2_S2_EEv20rocsparse_operation_S3_16rocsparse_order_S4_T4_S5_S5_T3_NS_24const_host_device_scalarIT2_EEPKT5_lPKT6_lS9_PT7_PKS6_SJ_21rocsparse_index_base_b
; %bb.0:
	s_load_dwordx2 s[12:13], s[4:5], 0x68
	s_load_dwordx2 s[2:3], s[4:5], 0x20
	s_waitcnt lgkmcnt(0)
	s_bitcmp1_b32 s13, 0
	s_cselect_b64 s[0:1], -1, 0
	s_xor_b64 s[14:15], s[0:1], -1
	s_and_b64 vcc, exec, s[0:1]
	v_mov_b32_e32 v1, s2
	s_cbranch_vccnz .LBB17_2
; %bb.1:
	v_pk_mov_b32 v[2:3], s[2:3], s[2:3] op_sel:[0,1]
	flat_load_dword v1, v[2:3]
.LBB17_2:
	s_load_dwordx4 s[8:11], s[4:5], 0x40
	v_cndmask_b32_e64 v2, 0, 1, s[14:15]
	v_cmp_ne_u32_e64 s[0:1], 1, v2
	s_andn2_b64 vcc, exec, s[14:15]
	v_mov_b32_e32 v3, s3
	s_cbranch_vccz .LBB17_14
; %bb.3:
	s_and_b64 vcc, exec, s[0:1]
	s_waitcnt lgkmcnt(0)
	v_mov_b32_e32 v4, s10
	s_cbranch_vccz .LBB17_15
.LBB17_4:
	s_and_b64 vcc, exec, s[0:1]
	v_mov_b32_e32 v6, s11
	s_cbranch_vccnz .LBB17_6
.LBB17_5:
	v_pk_mov_b32 v[6:7], s[10:11], s[10:11] op_sel:[0,1]
	flat_load_dword v6, v[6:7] offset:4
.LBB17_6:
	s_waitcnt vmcnt(0)
	v_or_b32_e32 v2, v1, v3
	v_and_b32_e32 v2, 0x7fffffff, v2
	v_cmp_eq_u32_e32 vcc, 0, v2
	s_mov_b64 s[0:1], -1
	s_and_saveexec_b64 s[2:3], vcc
	s_cbranch_execz .LBB17_8
; %bb.7:
	s_waitcnt lgkmcnt(0)
	v_cmp_neq_f32_e32 vcc, 1.0, v4
	v_cmp_neq_f32_e64 s[0:1], 0, v6
	s_or_b64 s[0:1], vcc, s[0:1]
	s_orn2_b64 s[0:1], s[0:1], exec
.LBB17_8:
	s_or_b64 exec, exec, s[2:3]
	s_and_saveexec_b64 s[2:3], s[0:1]
	s_cbranch_execz .LBB17_38
; %bb.9:
	s_load_dwordx2 s[10:11], s[4:5], 0x18
	v_lshrrev_b32_e32 v2, 2, v0
	v_lshl_or_b32 v8, s6, 7, v2
	s_waitcnt lgkmcnt(0)
	v_cmp_gt_i32_e32 vcc, s11, v8
	s_and_b64 exec, exec, vcc
	s_cbranch_execz .LBB17_38
; %bb.10:
	s_load_dwordx4 s[0:3], s[4:5], 0x58
	v_ashrrev_i32_e32 v9, 31, v8
	v_lshlrev_b64 v[10:11], 2, v[8:9]
	s_waitcnt lgkmcnt(0)
	v_mov_b32_e32 v5, s1
	v_add_co_u32_e32 v12, vcc, s0, v10
	v_addc_co_u32_e32 v13, vcc, v5, v11, vcc
	global_load_dword v7, v[12:13], off
	v_mov_b32_e32 v5, s3
	v_add_co_u32_e32 v10, vcc, s2, v10
	v_addc_co_u32_e32 v11, vcc, v5, v11, vcc
	global_load_dword v5, v[10:11], off
	s_load_dwordx4 s[0:3], s[4:5], 0x0
	s_load_dwordx2 s[6:7], s[4:5], 0x30
	s_waitcnt lgkmcnt(0)
	s_cmp_eq_u32 s2, 1
	s_cselect_b64 s[14:15], -1, 0
	s_cmpk_eq_i32 s0, 0x6f
	s_cselect_b64 s[16:17], -1, 0
	s_cmpk_lg_i32 s0, 0x6f
	s_cselect_b64 s[18:19], -1, 0
	s_cmp_lg_u32 s2, 1
	s_waitcnt vmcnt(1)
	v_subrev_u32_e32 v12, s12, v7
	v_ashrrev_i32_e32 v13, 31, v12
	s_cbranch_scc0 .LBB17_16
; %bb.11:
	s_andn2_b64 vcc, exec, s[16:17]
	v_pk_mov_b32 v[10:11], v[12:13], v[12:13] op_sel:[0,1]
	s_cbranch_vccnz .LBB17_13
; %bb.12:
	v_mul_lo_u32 v7, v13, s6
	v_mul_lo_u32 v14, v12, s7
	v_mad_u64_u32 v[10:11], s[20:21], v12, s6, 0
	v_add3_u32 v11, v11, v14, v7
.LBB17_13:
	s_cbranch_execz .LBB17_17
	s_branch .LBB17_20
.LBB17_14:
	v_pk_mov_b32 v[2:3], s[2:3], s[2:3] op_sel:[0,1]
	flat_load_dword v3, v[2:3] offset:4
	s_and_b64 vcc, exec, s[0:1]
	s_waitcnt lgkmcnt(0)
	v_mov_b32_e32 v4, s10
	s_cbranch_vccnz .LBB17_4
.LBB17_15:
	v_pk_mov_b32 v[4:5], s[10:11], s[10:11] op_sel:[0,1]
	flat_load_dword v4, v[4:5]
	s_and_b64 vcc, exec, s[0:1]
	v_mov_b32_e32 v6, s11
	s_cbranch_vccz .LBB17_5
	s_branch .LBB17_6
.LBB17_16:
                                        ; implicit-def: $vgpr10_vgpr11
.LBB17_17:
	s_andn2_b64 vcc, exec, s[18:19]
	s_cbranch_vccnz .LBB17_19
; %bb.18:
	v_mul_lo_u32 v7, v13, s6
	v_mul_lo_u32 v10, v12, s7
	v_mad_u64_u32 v[12:13], s[18:19], v12, s6, 0
	v_add3_u32 v13, v13, v10, v7
.LBB17_19:
	v_pk_mov_b32 v[10:11], v[12:13], v[12:13] op_sel:[0,1]
.LBB17_20:
	s_cmp_eq_u32 s3, 1
	s_waitcnt vmcnt(0)
	v_subrev_u32_e32 v12, s12, v5
	s_cselect_b64 s[12:13], -1, 0
	s_cmpk_eq_i32 s1, 0x6f
	s_cselect_b64 s[18:19], -1, 0
	s_cmpk_lg_i32 s1, 0x6f
	s_cselect_b64 s[0:1], -1, 0
	s_cmp_lg_u32 s3, 1
	v_ashrrev_i32_e32 v13, 31, v12
	s_cbranch_scc0 .LBB17_24
; %bb.21:
	s_andn2_b64 vcc, exec, s[0:1]
	v_pk_mov_b32 v[14:15], v[12:13], v[12:13] op_sel:[0,1]
	s_cbranch_vccnz .LBB17_23
; %bb.22:
	v_mul_lo_u32 v5, v13, s8
	v_mul_lo_u32 v7, v12, s9
	v_mad_u64_u32 v[14:15], s[0:1], v12, s8, 0
	v_add3_u32 v15, v15, v7, v5
.LBB17_23:
	s_cbranch_execz .LBB17_25
	s_branch .LBB17_28
.LBB17_24:
                                        ; implicit-def: $vgpr14_vgpr15
.LBB17_25:
	s_andn2_b64 vcc, exec, s[18:19]
	s_cbranch_vccnz .LBB17_27
; %bb.26:
	v_mul_lo_u32 v5, v13, s8
	v_mul_lo_u32 v7, v12, s9
	v_mad_u64_u32 v[12:13], s[0:1], v12, s8, 0
	v_add3_u32 v13, v13, v7, v5
.LBB17_27:
	v_pk_mov_b32 v[14:15], v[12:13], v[12:13] op_sel:[0,1]
.LBB17_28:
	s_load_dwordx2 s[0:1], s[4:5], 0x50
	v_and_b32_e32 v0, 3, v0
	v_mov_b32_e32 v13, 0
	v_cmp_gt_i32_e32 vcc, s10, v0
	v_mov_b32_e32 v12, v13
	s_and_saveexec_b64 s[2:3], vcc
	s_cbranch_execz .LBB17_32
; %bb.29:
	s_load_dwordx2 s[20:21], s[4:5], 0x38
	s_load_dwordx2 s[22:23], s[4:5], 0x28
	v_lshlrev_b64 v[12:13], 3, v[14:15]
	s_xor_b64 s[4:5], s[16:17], s[14:15]
	s_and_b64 s[4:5], s[4:5], exec
	s_waitcnt lgkmcnt(0)
	v_mov_b32_e32 v7, s21
	v_add_co_u32_e32 v5, vcc, s20, v12
	v_addc_co_u32_e32 v7, vcc, v7, v13, vcc
	v_lshlrev_b64 v[10:11], 3, v[10:11]
	s_cselect_b32 s7, 1, s6
	s_xor_b64 s[4:5], s[18:19], s[12:13]
	v_mov_b32_e32 v12, s23
	v_add_co_u32_e32 v16, vcc, s22, v10
	s_and_b64 s[4:5], s[4:5], exec
	v_addc_co_u32_e32 v17, vcc, v12, v11, vcc
	s_cselect_b32 s4, s8, 1
	v_mov_b32_e32 v12, 0
	v_mul_lo_u32 v10, s4, v0
	s_lshl_b32 s6, s4, 2
	v_mul_lo_u32 v14, s7, v0
	s_lshl_b32 s7, s7, 2
	s_mov_b64 s[4:5], 0
	v_mov_b32_e32 v18, v0
	v_mov_b32_e32 v13, v12
.LBB17_30:                              ; =>This Inner Loop Header: Depth=1
	v_ashrrev_i32_e32 v15, 31, v14
	v_lshlrev_b64 v[20:21], 3, v[14:15]
	v_add_co_u32_e32 v20, vcc, v16, v20
	v_ashrrev_i32_e32 v11, 31, v10
	v_addc_co_u32_e32 v21, vcc, v17, v21, vcc
	v_lshlrev_b64 v[22:23], 3, v[10:11]
	v_add_co_u32_e32 v22, vcc, v5, v22
	v_addc_co_u32_e32 v23, vcc, v7, v23, vcc
	global_load_dwordx2 v[24:25], v[20:21], off
	global_load_dwordx2 v[26:27], v[22:23], off
	v_add_u32_e32 v18, 4, v18
	v_cmp_le_i32_e32 vcc, s10, v18
	v_add_u32_e32 v10, s6, v10
	s_or_b64 s[4:5], vcc, s[4:5]
	v_add_u32_e32 v14, s7, v14
	s_waitcnt vmcnt(0)
	v_pk_mul_f32 v[20:21], v[26:27], v[24:25] op_sel:[1,1] op_sel_hi:[1,0] neg_lo:[0,1]
	v_pk_fma_f32 v[20:21], v[24:25], v[26:27], v[20:21] op_sel_hi:[1,0,1]
	v_pk_add_f32 v[12:13], v[12:13], v[20:21]
	s_andn2_b64 exec, exec, s[4:5]
	s_cbranch_execnz .LBB17_30
; %bb.31:
	s_or_b64 exec, exec, s[4:5]
.LBB17_32:
	s_or_b64 exec, exec, s[2:3]
	v_lshlrev_b32_e32 v5, 3, v0
	v_lshl_or_b32 v5, v2, 5, v5
	v_cmp_gt_u32_e32 vcc, 2, v0
	ds_write_b64 v5, v[12:13]
	s_waitcnt lgkmcnt(0)
	s_barrier
	s_and_saveexec_b64 s[2:3], vcc
	s_cbranch_execz .LBB17_34
; %bb.33:
	ds_read2_b64 v[10:13], v5 offset1:2
	s_waitcnt lgkmcnt(0)
	v_pk_add_f32 v[10:11], v[12:13], v[10:11]
	ds_write_b64 v5, v[10:11]
.LBB17_34:
	s_or_b64 exec, exec, s[2:3]
	v_cmp_eq_u32_e32 vcc, 0, v0
	v_lshlrev_b32_e32 v0, 5, v2
	s_waitcnt lgkmcnt(0)
	s_barrier
	s_and_saveexec_b64 s[2:3], vcc
	s_cbranch_execz .LBB17_36
; %bb.35:
	ds_read_b64 v[10:11], v0 offset:8
	ds_read_b64 v[12:13], v5
	s_waitcnt lgkmcnt(0)
	v_pk_add_f32 v[10:11], v[10:11], v[12:13]
	ds_write_b64 v5, v[10:11]
.LBB17_36:
	s_or_b64 exec, exec, s[2:3]
	s_waitcnt lgkmcnt(0)
	s_barrier
	s_and_b64 exec, exec, vcc
	s_cbranch_execz .LBB17_38
; %bb.37:
	v_lshlrev_b64 v[8:9], 3, v[8:9]
	v_mov_b32_e32 v2, s1
	v_add_co_u32_e32 v8, vcc, s0, v8
	v_addc_co_u32_e32 v9, vcc, v2, v9, vcc
	global_load_dwordx2 v[10:11], v[8:9], off
	ds_read_b64 v[12:13], v0
	v_xor_b32_e32 v15, 0x80000000, v3
	s_waitcnt lgkmcnt(0)
	v_mov_b32_e32 v7, v13
	v_mov_b32_e32 v5, v12
	s_waitcnt vmcnt(0)
	v_mov_b32_e32 v14, v10
	v_mov_b32_e32 v0, v11
	v_pk_mul_f32 v[12:13], v[6:7], v[14:15]
	v_pk_fma_f32 v[12:13], v[0:1], v[4:5], v[12:13]
	v_xor_b32_e32 v0, 0x80000000, v11
	v_mov_b32_e32 v2, v10
	v_pk_mul_f32 v[0:1], v[6:7], v[0:1]
	v_pk_fma_f32 v[0:1], v[2:3], v[4:5], v[0:1]
	v_pk_add_f32 v[0:1], v[12:13], v[0:1] op_sel:[0,1] op_sel_hi:[1,0]
	v_mov_b32_e32 v2, v1
	v_mov_b32_e32 v3, v0
	global_store_dwordx2 v[8:9], v[2:3], off
.LBB17_38:
	s_endpgm
	.section	.rodata,"a",@progbits
	.p2align	6, 0x0
	.amdhsa_kernel _ZN9rocsparseL17sddmm_coox_kernelILi512ELi4ELb0E21rocsparse_complex_numIfEiiS2_S2_S2_EEv20rocsparse_operation_S3_16rocsparse_order_S4_T4_S5_S5_T3_NS_24const_host_device_scalarIT2_EEPKT5_lPKT6_lS9_PT7_PKS6_SJ_21rocsparse_index_base_b
		.amdhsa_group_segment_fixed_size 4096
		.amdhsa_private_segment_fixed_size 0
		.amdhsa_kernarg_size 112
		.amdhsa_user_sgpr_count 6
		.amdhsa_user_sgpr_private_segment_buffer 1
		.amdhsa_user_sgpr_dispatch_ptr 0
		.amdhsa_user_sgpr_queue_ptr 0
		.amdhsa_user_sgpr_kernarg_segment_ptr 1
		.amdhsa_user_sgpr_dispatch_id 0
		.amdhsa_user_sgpr_flat_scratch_init 0
		.amdhsa_user_sgpr_kernarg_preload_length 0
		.amdhsa_user_sgpr_kernarg_preload_offset 0
		.amdhsa_user_sgpr_private_segment_size 0
		.amdhsa_uses_dynamic_stack 0
		.amdhsa_system_sgpr_private_segment_wavefront_offset 0
		.amdhsa_system_sgpr_workgroup_id_x 1
		.amdhsa_system_sgpr_workgroup_id_y 0
		.amdhsa_system_sgpr_workgroup_id_z 0
		.amdhsa_system_sgpr_workgroup_info 0
		.amdhsa_system_vgpr_workitem_id 0
		.amdhsa_next_free_vgpr 28
		.amdhsa_next_free_sgpr 24
		.amdhsa_accum_offset 28
		.amdhsa_reserve_vcc 1
		.amdhsa_reserve_flat_scratch 0
		.amdhsa_float_round_mode_32 0
		.amdhsa_float_round_mode_16_64 0
		.amdhsa_float_denorm_mode_32 3
		.amdhsa_float_denorm_mode_16_64 3
		.amdhsa_dx10_clamp 1
		.amdhsa_ieee_mode 1
		.amdhsa_fp16_overflow 0
		.amdhsa_tg_split 0
		.amdhsa_exception_fp_ieee_invalid_op 0
		.amdhsa_exception_fp_denorm_src 0
		.amdhsa_exception_fp_ieee_div_zero 0
		.amdhsa_exception_fp_ieee_overflow 0
		.amdhsa_exception_fp_ieee_underflow 0
		.amdhsa_exception_fp_ieee_inexact 0
		.amdhsa_exception_int_div_zero 0
	.end_amdhsa_kernel
	.section	.text._ZN9rocsparseL17sddmm_coox_kernelILi512ELi4ELb0E21rocsparse_complex_numIfEiiS2_S2_S2_EEv20rocsparse_operation_S3_16rocsparse_order_S4_T4_S5_S5_T3_NS_24const_host_device_scalarIT2_EEPKT5_lPKT6_lS9_PT7_PKS6_SJ_21rocsparse_index_base_b,"axG",@progbits,_ZN9rocsparseL17sddmm_coox_kernelILi512ELi4ELb0E21rocsparse_complex_numIfEiiS2_S2_S2_EEv20rocsparse_operation_S3_16rocsparse_order_S4_T4_S5_S5_T3_NS_24const_host_device_scalarIT2_EEPKT5_lPKT6_lS9_PT7_PKS6_SJ_21rocsparse_index_base_b,comdat
.Lfunc_end17:
	.size	_ZN9rocsparseL17sddmm_coox_kernelILi512ELi4ELb0E21rocsparse_complex_numIfEiiS2_S2_S2_EEv20rocsparse_operation_S3_16rocsparse_order_S4_T4_S5_S5_T3_NS_24const_host_device_scalarIT2_EEPKT5_lPKT6_lS9_PT7_PKS6_SJ_21rocsparse_index_base_b, .Lfunc_end17-_ZN9rocsparseL17sddmm_coox_kernelILi512ELi4ELb0E21rocsparse_complex_numIfEiiS2_S2_S2_EEv20rocsparse_operation_S3_16rocsparse_order_S4_T4_S5_S5_T3_NS_24const_host_device_scalarIT2_EEPKT5_lPKT6_lS9_PT7_PKS6_SJ_21rocsparse_index_base_b
                                        ; -- End function
	.section	.AMDGPU.csdata,"",@progbits
; Kernel info:
; codeLenInByte = 1256
; NumSgprs: 28
; NumVgprs: 28
; NumAgprs: 0
; TotalNumVgprs: 28
; ScratchSize: 0
; MemoryBound: 0
; FloatMode: 240
; IeeeMode: 1
; LDSByteSize: 4096 bytes/workgroup (compile time only)
; SGPRBlocks: 3
; VGPRBlocks: 3
; NumSGPRsForWavesPerEU: 28
; NumVGPRsForWavesPerEU: 28
; AccumOffset: 28
; Occupancy: 8
; WaveLimiterHint : 1
; COMPUTE_PGM_RSRC2:SCRATCH_EN: 0
; COMPUTE_PGM_RSRC2:USER_SGPR: 6
; COMPUTE_PGM_RSRC2:TRAP_HANDLER: 0
; COMPUTE_PGM_RSRC2:TGID_X_EN: 1
; COMPUTE_PGM_RSRC2:TGID_Y_EN: 0
; COMPUTE_PGM_RSRC2:TGID_Z_EN: 0
; COMPUTE_PGM_RSRC2:TIDIG_COMP_CNT: 0
; COMPUTE_PGM_RSRC3_GFX90A:ACCUM_OFFSET: 6
; COMPUTE_PGM_RSRC3_GFX90A:TG_SPLIT: 0
	.section	.text._ZN9rocsparseL17sddmm_coox_kernelILi512ELi2ELb0E21rocsparse_complex_numIfEiiS2_S2_S2_EEv20rocsparse_operation_S3_16rocsparse_order_S4_T4_S5_S5_T3_NS_24const_host_device_scalarIT2_EEPKT5_lPKT6_lS9_PT7_PKS6_SJ_21rocsparse_index_base_b,"axG",@progbits,_ZN9rocsparseL17sddmm_coox_kernelILi512ELi2ELb0E21rocsparse_complex_numIfEiiS2_S2_S2_EEv20rocsparse_operation_S3_16rocsparse_order_S4_T4_S5_S5_T3_NS_24const_host_device_scalarIT2_EEPKT5_lPKT6_lS9_PT7_PKS6_SJ_21rocsparse_index_base_b,comdat
	.globl	_ZN9rocsparseL17sddmm_coox_kernelILi512ELi2ELb0E21rocsparse_complex_numIfEiiS2_S2_S2_EEv20rocsparse_operation_S3_16rocsparse_order_S4_T4_S5_S5_T3_NS_24const_host_device_scalarIT2_EEPKT5_lPKT6_lS9_PT7_PKS6_SJ_21rocsparse_index_base_b ; -- Begin function _ZN9rocsparseL17sddmm_coox_kernelILi512ELi2ELb0E21rocsparse_complex_numIfEiiS2_S2_S2_EEv20rocsparse_operation_S3_16rocsparse_order_S4_T4_S5_S5_T3_NS_24const_host_device_scalarIT2_EEPKT5_lPKT6_lS9_PT7_PKS6_SJ_21rocsparse_index_base_b
	.p2align	8
	.type	_ZN9rocsparseL17sddmm_coox_kernelILi512ELi2ELb0E21rocsparse_complex_numIfEiiS2_S2_S2_EEv20rocsparse_operation_S3_16rocsparse_order_S4_T4_S5_S5_T3_NS_24const_host_device_scalarIT2_EEPKT5_lPKT6_lS9_PT7_PKS6_SJ_21rocsparse_index_base_b,@function
_ZN9rocsparseL17sddmm_coox_kernelILi512ELi2ELb0E21rocsparse_complex_numIfEiiS2_S2_S2_EEv20rocsparse_operation_S3_16rocsparse_order_S4_T4_S5_S5_T3_NS_24const_host_device_scalarIT2_EEPKT5_lPKT6_lS9_PT7_PKS6_SJ_21rocsparse_index_base_b: ; @_ZN9rocsparseL17sddmm_coox_kernelILi512ELi2ELb0E21rocsparse_complex_numIfEiiS2_S2_S2_EEv20rocsparse_operation_S3_16rocsparse_order_S4_T4_S5_S5_T3_NS_24const_host_device_scalarIT2_EEPKT5_lPKT6_lS9_PT7_PKS6_SJ_21rocsparse_index_base_b
; %bb.0:
	s_load_dwordx2 s[12:13], s[4:5], 0x68
	s_load_dwordx2 s[2:3], s[4:5], 0x20
	s_waitcnt lgkmcnt(0)
	s_bitcmp1_b32 s13, 0
	s_cselect_b64 s[0:1], -1, 0
	s_xor_b64 s[14:15], s[0:1], -1
	s_and_b64 vcc, exec, s[0:1]
	v_mov_b32_e32 v1, s2
	s_cbranch_vccnz .LBB18_2
; %bb.1:
	v_pk_mov_b32 v[2:3], s[2:3], s[2:3] op_sel:[0,1]
	flat_load_dword v1, v[2:3]
.LBB18_2:
	s_load_dwordx4 s[8:11], s[4:5], 0x40
	v_cndmask_b32_e64 v2, 0, 1, s[14:15]
	v_cmp_ne_u32_e64 s[0:1], 1, v2
	s_andn2_b64 vcc, exec, s[14:15]
	v_mov_b32_e32 v3, s3
	s_cbranch_vccz .LBB18_14
; %bb.3:
	s_and_b64 vcc, exec, s[0:1]
	s_waitcnt lgkmcnt(0)
	v_mov_b32_e32 v4, s10
	s_cbranch_vccz .LBB18_15
.LBB18_4:
	s_and_b64 vcc, exec, s[0:1]
	v_mov_b32_e32 v6, s11
	s_cbranch_vccnz .LBB18_6
.LBB18_5:
	v_pk_mov_b32 v[6:7], s[10:11], s[10:11] op_sel:[0,1]
	flat_load_dword v6, v[6:7] offset:4
.LBB18_6:
	s_waitcnt vmcnt(0)
	v_or_b32_e32 v2, v1, v3
	v_and_b32_e32 v2, 0x7fffffff, v2
	v_cmp_eq_u32_e32 vcc, 0, v2
	s_mov_b64 s[0:1], -1
	s_and_saveexec_b64 s[2:3], vcc
	s_cbranch_execz .LBB18_8
; %bb.7:
	s_waitcnt lgkmcnt(0)
	v_cmp_neq_f32_e32 vcc, 1.0, v4
	v_cmp_neq_f32_e64 s[0:1], 0, v6
	s_or_b64 s[0:1], vcc, s[0:1]
	s_orn2_b64 s[0:1], s[0:1], exec
.LBB18_8:
	s_or_b64 exec, exec, s[2:3]
	s_and_saveexec_b64 s[2:3], s[0:1]
	s_cbranch_execz .LBB18_36
; %bb.9:
	s_load_dwordx2 s[10:11], s[4:5], 0x18
	v_lshrrev_b32_e32 v2, 1, v0
	v_lshl_or_b32 v8, s6, 8, v2
	s_waitcnt lgkmcnt(0)
	v_cmp_gt_i32_e32 vcc, s11, v8
	s_and_b64 exec, exec, vcc
	s_cbranch_execz .LBB18_36
; %bb.10:
	s_load_dwordx4 s[0:3], s[4:5], 0x58
	v_ashrrev_i32_e32 v9, 31, v8
	v_lshlrev_b64 v[10:11], 2, v[8:9]
	s_waitcnt lgkmcnt(0)
	v_mov_b32_e32 v5, s1
	v_add_co_u32_e32 v12, vcc, s0, v10
	v_addc_co_u32_e32 v13, vcc, v5, v11, vcc
	global_load_dword v7, v[12:13], off
	v_mov_b32_e32 v5, s3
	v_add_co_u32_e32 v10, vcc, s2, v10
	v_addc_co_u32_e32 v11, vcc, v5, v11, vcc
	global_load_dword v5, v[10:11], off
	s_load_dwordx4 s[0:3], s[4:5], 0x0
	s_load_dwordx2 s[6:7], s[4:5], 0x30
	s_waitcnt lgkmcnt(0)
	s_cmp_eq_u32 s2, 1
	s_cselect_b64 s[14:15], -1, 0
	s_cmpk_eq_i32 s0, 0x6f
	s_cselect_b64 s[16:17], -1, 0
	s_cmpk_lg_i32 s0, 0x6f
	s_cselect_b64 s[18:19], -1, 0
	s_cmp_lg_u32 s2, 1
	s_waitcnt vmcnt(1)
	v_subrev_u32_e32 v12, s12, v7
	v_ashrrev_i32_e32 v13, 31, v12
	s_cbranch_scc0 .LBB18_16
; %bb.11:
	s_andn2_b64 vcc, exec, s[16:17]
	v_pk_mov_b32 v[10:11], v[12:13], v[12:13] op_sel:[0,1]
	s_cbranch_vccnz .LBB18_13
; %bb.12:
	v_mul_lo_u32 v7, v13, s6
	v_mul_lo_u32 v14, v12, s7
	v_mad_u64_u32 v[10:11], s[20:21], v12, s6, 0
	v_add3_u32 v11, v11, v14, v7
.LBB18_13:
	s_cbranch_execz .LBB18_17
	s_branch .LBB18_20
.LBB18_14:
	v_pk_mov_b32 v[2:3], s[2:3], s[2:3] op_sel:[0,1]
	flat_load_dword v3, v[2:3] offset:4
	s_and_b64 vcc, exec, s[0:1]
	s_waitcnt lgkmcnt(0)
	v_mov_b32_e32 v4, s10
	s_cbranch_vccnz .LBB18_4
.LBB18_15:
	v_pk_mov_b32 v[4:5], s[10:11], s[10:11] op_sel:[0,1]
	flat_load_dword v4, v[4:5]
	s_and_b64 vcc, exec, s[0:1]
	v_mov_b32_e32 v6, s11
	s_cbranch_vccz .LBB18_5
	s_branch .LBB18_6
.LBB18_16:
                                        ; implicit-def: $vgpr10_vgpr11
.LBB18_17:
	s_andn2_b64 vcc, exec, s[18:19]
	s_cbranch_vccnz .LBB18_19
; %bb.18:
	v_mul_lo_u32 v7, v13, s6
	v_mul_lo_u32 v10, v12, s7
	v_mad_u64_u32 v[12:13], s[18:19], v12, s6, 0
	v_add3_u32 v13, v13, v10, v7
.LBB18_19:
	v_pk_mov_b32 v[10:11], v[12:13], v[12:13] op_sel:[0,1]
.LBB18_20:
	s_cmp_eq_u32 s3, 1
	s_waitcnt vmcnt(0)
	v_subrev_u32_e32 v12, s12, v5
	s_cselect_b64 s[12:13], -1, 0
	s_cmpk_eq_i32 s1, 0x6f
	s_cselect_b64 s[18:19], -1, 0
	s_cmpk_lg_i32 s1, 0x6f
	s_cselect_b64 s[0:1], -1, 0
	s_cmp_lg_u32 s3, 1
	v_ashrrev_i32_e32 v13, 31, v12
	s_cbranch_scc0 .LBB18_24
; %bb.21:
	s_andn2_b64 vcc, exec, s[0:1]
	v_pk_mov_b32 v[14:15], v[12:13], v[12:13] op_sel:[0,1]
	s_cbranch_vccnz .LBB18_23
; %bb.22:
	v_mul_lo_u32 v5, v13, s8
	v_mul_lo_u32 v7, v12, s9
	v_mad_u64_u32 v[14:15], s[0:1], v12, s8, 0
	v_add3_u32 v15, v15, v7, v5
.LBB18_23:
	s_cbranch_execz .LBB18_25
	s_branch .LBB18_28
.LBB18_24:
                                        ; implicit-def: $vgpr14_vgpr15
.LBB18_25:
	s_andn2_b64 vcc, exec, s[18:19]
	s_cbranch_vccnz .LBB18_27
; %bb.26:
	v_mul_lo_u32 v5, v13, s8
	v_mul_lo_u32 v7, v12, s9
	v_mad_u64_u32 v[12:13], s[0:1], v12, s8, 0
	v_add3_u32 v13, v13, v7, v5
.LBB18_27:
	v_pk_mov_b32 v[14:15], v[12:13], v[12:13] op_sel:[0,1]
.LBB18_28:
	s_load_dwordx2 s[0:1], s[4:5], 0x50
	v_and_b32_e32 v0, 1, v0
	v_mov_b32_e32 v13, 0
	v_cmp_gt_i32_e32 vcc, s10, v0
	v_mov_b32_e32 v12, v13
	s_and_saveexec_b64 s[2:3], vcc
	s_cbranch_execz .LBB18_32
; %bb.29:
	s_load_dwordx2 s[20:21], s[4:5], 0x38
	s_load_dwordx2 s[22:23], s[4:5], 0x28
	v_lshlrev_b64 v[12:13], 3, v[14:15]
	s_xor_b64 s[4:5], s[16:17], s[14:15]
	s_and_b64 s[4:5], s[4:5], exec
	s_waitcnt lgkmcnt(0)
	v_mov_b32_e32 v7, s21
	v_add_co_u32_e32 v5, vcc, s20, v12
	v_addc_co_u32_e32 v7, vcc, v7, v13, vcc
	v_lshlrev_b64 v[10:11], 3, v[10:11]
	s_cselect_b32 s7, 1, s6
	s_xor_b64 s[4:5], s[18:19], s[12:13]
	v_mov_b32_e32 v12, s23
	v_add_co_u32_e32 v16, vcc, s22, v10
	s_and_b64 s[4:5], s[4:5], exec
	v_addc_co_u32_e32 v17, vcc, v12, v11, vcc
	s_cselect_b32 s4, s8, 1
	v_mov_b32_e32 v12, 0
	v_mul_lo_u32 v10, s4, v0
	s_lshl_b32 s6, s4, 1
	v_mul_lo_u32 v14, s7, v0
	s_lshl_b32 s7, s7, 1
	s_mov_b64 s[4:5], 0
	v_mov_b32_e32 v18, v0
	v_mov_b32_e32 v13, v12
.LBB18_30:                              ; =>This Inner Loop Header: Depth=1
	v_ashrrev_i32_e32 v15, 31, v14
	v_lshlrev_b64 v[20:21], 3, v[14:15]
	v_add_co_u32_e32 v20, vcc, v16, v20
	v_ashrrev_i32_e32 v11, 31, v10
	v_addc_co_u32_e32 v21, vcc, v17, v21, vcc
	v_lshlrev_b64 v[22:23], 3, v[10:11]
	v_add_co_u32_e32 v22, vcc, v5, v22
	v_addc_co_u32_e32 v23, vcc, v7, v23, vcc
	global_load_dwordx2 v[24:25], v[20:21], off
	global_load_dwordx2 v[26:27], v[22:23], off
	v_add_u32_e32 v18, 2, v18
	v_cmp_le_i32_e32 vcc, s10, v18
	v_add_u32_e32 v10, s6, v10
	s_or_b64 s[4:5], vcc, s[4:5]
	v_add_u32_e32 v14, s7, v14
	s_waitcnt vmcnt(0)
	v_pk_mul_f32 v[20:21], v[26:27], v[24:25] op_sel:[1,1] op_sel_hi:[1,0] neg_lo:[0,1]
	v_pk_fma_f32 v[20:21], v[24:25], v[26:27], v[20:21] op_sel_hi:[1,0,1]
	v_pk_add_f32 v[12:13], v[12:13], v[20:21]
	s_andn2_b64 exec, exec, s[4:5]
	s_cbranch_execnz .LBB18_30
; %bb.31:
	s_or_b64 exec, exec, s[4:5]
.LBB18_32:
	s_or_b64 exec, exec, s[2:3]
	v_lshlrev_b32_e32 v2, 4, v2
	v_lshl_or_b32 v5, v0, 3, v2
	v_cmp_eq_u32_e32 vcc, 0, v0
	ds_write_b64 v5, v[12:13]
	s_waitcnt lgkmcnt(0)
	s_barrier
	s_and_saveexec_b64 s[2:3], vcc
	s_cbranch_execz .LBB18_34
; %bb.33:
	ds_read_b64 v[10:11], v2 offset:8
	ds_read_b64 v[12:13], v5
	s_waitcnt lgkmcnt(0)
	v_pk_add_f32 v[10:11], v[10:11], v[12:13]
	ds_write_b64 v5, v[10:11]
.LBB18_34:
	s_or_b64 exec, exec, s[2:3]
	s_waitcnt lgkmcnt(0)
	s_barrier
	s_and_b64 exec, exec, vcc
	s_cbranch_execz .LBB18_36
; %bb.35:
	v_lshlrev_b64 v[8:9], 3, v[8:9]
	v_mov_b32_e32 v0, s1
	v_add_co_u32_e32 v8, vcc, s0, v8
	v_addc_co_u32_e32 v9, vcc, v0, v9, vcc
	global_load_dwordx2 v[10:11], v[8:9], off
	ds_read_b64 v[12:13], v2
	v_xor_b32_e32 v15, 0x80000000, v3
	s_waitcnt lgkmcnt(0)
	v_mov_b32_e32 v7, v13
	v_mov_b32_e32 v5, v12
	s_waitcnt vmcnt(0)
	v_mov_b32_e32 v14, v10
	v_mov_b32_e32 v0, v11
	v_pk_mul_f32 v[12:13], v[6:7], v[14:15]
	v_pk_fma_f32 v[12:13], v[0:1], v[4:5], v[12:13]
	v_xor_b32_e32 v0, 0x80000000, v11
	v_mov_b32_e32 v2, v10
	v_pk_mul_f32 v[0:1], v[6:7], v[0:1]
	v_pk_fma_f32 v[0:1], v[2:3], v[4:5], v[0:1]
	v_pk_add_f32 v[0:1], v[12:13], v[0:1] op_sel:[0,1] op_sel_hi:[1,0]
	v_mov_b32_e32 v2, v1
	v_mov_b32_e32 v3, v0
	global_store_dwordx2 v[8:9], v[2:3], off
.LBB18_36:
	s_endpgm
	.section	.rodata,"a",@progbits
	.p2align	6, 0x0
	.amdhsa_kernel _ZN9rocsparseL17sddmm_coox_kernelILi512ELi2ELb0E21rocsparse_complex_numIfEiiS2_S2_S2_EEv20rocsparse_operation_S3_16rocsparse_order_S4_T4_S5_S5_T3_NS_24const_host_device_scalarIT2_EEPKT5_lPKT6_lS9_PT7_PKS6_SJ_21rocsparse_index_base_b
		.amdhsa_group_segment_fixed_size 4096
		.amdhsa_private_segment_fixed_size 0
		.amdhsa_kernarg_size 112
		.amdhsa_user_sgpr_count 6
		.amdhsa_user_sgpr_private_segment_buffer 1
		.amdhsa_user_sgpr_dispatch_ptr 0
		.amdhsa_user_sgpr_queue_ptr 0
		.amdhsa_user_sgpr_kernarg_segment_ptr 1
		.amdhsa_user_sgpr_dispatch_id 0
		.amdhsa_user_sgpr_flat_scratch_init 0
		.amdhsa_user_sgpr_kernarg_preload_length 0
		.amdhsa_user_sgpr_kernarg_preload_offset 0
		.amdhsa_user_sgpr_private_segment_size 0
		.amdhsa_uses_dynamic_stack 0
		.amdhsa_system_sgpr_private_segment_wavefront_offset 0
		.amdhsa_system_sgpr_workgroup_id_x 1
		.amdhsa_system_sgpr_workgroup_id_y 0
		.amdhsa_system_sgpr_workgroup_id_z 0
		.amdhsa_system_sgpr_workgroup_info 0
		.amdhsa_system_vgpr_workitem_id 0
		.amdhsa_next_free_vgpr 28
		.amdhsa_next_free_sgpr 24
		.amdhsa_accum_offset 28
		.amdhsa_reserve_vcc 1
		.amdhsa_reserve_flat_scratch 0
		.amdhsa_float_round_mode_32 0
		.amdhsa_float_round_mode_16_64 0
		.amdhsa_float_denorm_mode_32 3
		.amdhsa_float_denorm_mode_16_64 3
		.amdhsa_dx10_clamp 1
		.amdhsa_ieee_mode 1
		.amdhsa_fp16_overflow 0
		.amdhsa_tg_split 0
		.amdhsa_exception_fp_ieee_invalid_op 0
		.amdhsa_exception_fp_denorm_src 0
		.amdhsa_exception_fp_ieee_div_zero 0
		.amdhsa_exception_fp_ieee_overflow 0
		.amdhsa_exception_fp_ieee_underflow 0
		.amdhsa_exception_fp_ieee_inexact 0
		.amdhsa_exception_int_div_zero 0
	.end_amdhsa_kernel
	.section	.text._ZN9rocsparseL17sddmm_coox_kernelILi512ELi2ELb0E21rocsparse_complex_numIfEiiS2_S2_S2_EEv20rocsparse_operation_S3_16rocsparse_order_S4_T4_S5_S5_T3_NS_24const_host_device_scalarIT2_EEPKT5_lPKT6_lS9_PT7_PKS6_SJ_21rocsparse_index_base_b,"axG",@progbits,_ZN9rocsparseL17sddmm_coox_kernelILi512ELi2ELb0E21rocsparse_complex_numIfEiiS2_S2_S2_EEv20rocsparse_operation_S3_16rocsparse_order_S4_T4_S5_S5_T3_NS_24const_host_device_scalarIT2_EEPKT5_lPKT6_lS9_PT7_PKS6_SJ_21rocsparse_index_base_b,comdat
.Lfunc_end18:
	.size	_ZN9rocsparseL17sddmm_coox_kernelILi512ELi2ELb0E21rocsparse_complex_numIfEiiS2_S2_S2_EEv20rocsparse_operation_S3_16rocsparse_order_S4_T4_S5_S5_T3_NS_24const_host_device_scalarIT2_EEPKT5_lPKT6_lS9_PT7_PKS6_SJ_21rocsparse_index_base_b, .Lfunc_end18-_ZN9rocsparseL17sddmm_coox_kernelILi512ELi2ELb0E21rocsparse_complex_numIfEiiS2_S2_S2_EEv20rocsparse_operation_S3_16rocsparse_order_S4_T4_S5_S5_T3_NS_24const_host_device_scalarIT2_EEPKT5_lPKT6_lS9_PT7_PKS6_SJ_21rocsparse_index_base_b
                                        ; -- End function
	.section	.AMDGPU.csdata,"",@progbits
; Kernel info:
; codeLenInByte = 1200
; NumSgprs: 28
; NumVgprs: 28
; NumAgprs: 0
; TotalNumVgprs: 28
; ScratchSize: 0
; MemoryBound: 0
; FloatMode: 240
; IeeeMode: 1
; LDSByteSize: 4096 bytes/workgroup (compile time only)
; SGPRBlocks: 3
; VGPRBlocks: 3
; NumSGPRsForWavesPerEU: 28
; NumVGPRsForWavesPerEU: 28
; AccumOffset: 28
; Occupancy: 8
; WaveLimiterHint : 1
; COMPUTE_PGM_RSRC2:SCRATCH_EN: 0
; COMPUTE_PGM_RSRC2:USER_SGPR: 6
; COMPUTE_PGM_RSRC2:TRAP_HANDLER: 0
; COMPUTE_PGM_RSRC2:TGID_X_EN: 1
; COMPUTE_PGM_RSRC2:TGID_Y_EN: 0
; COMPUTE_PGM_RSRC2:TGID_Z_EN: 0
; COMPUTE_PGM_RSRC2:TIDIG_COMP_CNT: 0
; COMPUTE_PGM_RSRC3_GFX90A:ACCUM_OFFSET: 6
; COMPUTE_PGM_RSRC3_GFX90A:TG_SPLIT: 0
	.section	.text._ZN9rocsparseL17sddmm_coox_kernelILi512ELi1ELb0E21rocsparse_complex_numIfEiiS2_S2_S2_EEv20rocsparse_operation_S3_16rocsparse_order_S4_T4_S5_S5_T3_NS_24const_host_device_scalarIT2_EEPKT5_lPKT6_lS9_PT7_PKS6_SJ_21rocsparse_index_base_b,"axG",@progbits,_ZN9rocsparseL17sddmm_coox_kernelILi512ELi1ELb0E21rocsparse_complex_numIfEiiS2_S2_S2_EEv20rocsparse_operation_S3_16rocsparse_order_S4_T4_S5_S5_T3_NS_24const_host_device_scalarIT2_EEPKT5_lPKT6_lS9_PT7_PKS6_SJ_21rocsparse_index_base_b,comdat
	.globl	_ZN9rocsparseL17sddmm_coox_kernelILi512ELi1ELb0E21rocsparse_complex_numIfEiiS2_S2_S2_EEv20rocsparse_operation_S3_16rocsparse_order_S4_T4_S5_S5_T3_NS_24const_host_device_scalarIT2_EEPKT5_lPKT6_lS9_PT7_PKS6_SJ_21rocsparse_index_base_b ; -- Begin function _ZN9rocsparseL17sddmm_coox_kernelILi512ELi1ELb0E21rocsparse_complex_numIfEiiS2_S2_S2_EEv20rocsparse_operation_S3_16rocsparse_order_S4_T4_S5_S5_T3_NS_24const_host_device_scalarIT2_EEPKT5_lPKT6_lS9_PT7_PKS6_SJ_21rocsparse_index_base_b
	.p2align	8
	.type	_ZN9rocsparseL17sddmm_coox_kernelILi512ELi1ELb0E21rocsparse_complex_numIfEiiS2_S2_S2_EEv20rocsparse_operation_S3_16rocsparse_order_S4_T4_S5_S5_T3_NS_24const_host_device_scalarIT2_EEPKT5_lPKT6_lS9_PT7_PKS6_SJ_21rocsparse_index_base_b,@function
_ZN9rocsparseL17sddmm_coox_kernelILi512ELi1ELb0E21rocsparse_complex_numIfEiiS2_S2_S2_EEv20rocsparse_operation_S3_16rocsparse_order_S4_T4_S5_S5_T3_NS_24const_host_device_scalarIT2_EEPKT5_lPKT6_lS9_PT7_PKS6_SJ_21rocsparse_index_base_b: ; @_ZN9rocsparseL17sddmm_coox_kernelILi512ELi1ELb0E21rocsparse_complex_numIfEiiS2_S2_S2_EEv20rocsparse_operation_S3_16rocsparse_order_S4_T4_S5_S5_T3_NS_24const_host_device_scalarIT2_EEPKT5_lPKT6_lS9_PT7_PKS6_SJ_21rocsparse_index_base_b
; %bb.0:
	s_load_dwordx2 s[12:13], s[4:5], 0x68
	s_load_dwordx2 s[2:3], s[4:5], 0x20
	s_waitcnt lgkmcnt(0)
	s_bitcmp1_b32 s13, 0
	s_cselect_b64 s[0:1], -1, 0
	s_xor_b64 s[14:15], s[0:1], -1
	s_and_b64 vcc, exec, s[0:1]
	v_mov_b32_e32 v1, s2
	s_cbranch_vccnz .LBB19_2
; %bb.1:
	v_pk_mov_b32 v[2:3], s[2:3], s[2:3] op_sel:[0,1]
	flat_load_dword v1, v[2:3]
.LBB19_2:
	s_load_dwordx4 s[8:11], s[4:5], 0x40
	v_cndmask_b32_e64 v2, 0, 1, s[14:15]
	v_cmp_ne_u32_e64 s[0:1], 1, v2
	s_andn2_b64 vcc, exec, s[14:15]
	v_mov_b32_e32 v3, s3
	s_cbranch_vccz .LBB19_14
; %bb.3:
	s_and_b64 vcc, exec, s[0:1]
	s_waitcnt lgkmcnt(0)
	v_mov_b32_e32 v4, s10
	s_cbranch_vccz .LBB19_15
.LBB19_4:
	s_and_b64 vcc, exec, s[0:1]
	v_mov_b32_e32 v6, s11
	s_cbranch_vccnz .LBB19_6
.LBB19_5:
	v_pk_mov_b32 v[6:7], s[10:11], s[10:11] op_sel:[0,1]
	flat_load_dword v6, v[6:7] offset:4
.LBB19_6:
	s_waitcnt vmcnt(0)
	v_or_b32_e32 v2, v1, v3
	v_and_b32_e32 v2, 0x7fffffff, v2
	v_cmp_eq_u32_e32 vcc, 0, v2
	s_mov_b64 s[0:1], -1
	s_and_saveexec_b64 s[2:3], vcc
	s_cbranch_execz .LBB19_8
; %bb.7:
	s_waitcnt lgkmcnt(0)
	v_cmp_neq_f32_e32 vcc, 1.0, v4
	v_cmp_neq_f32_e64 s[0:1], 0, v6
	s_or_b64 s[0:1], vcc, s[0:1]
	s_orn2_b64 s[0:1], s[0:1], exec
.LBB19_8:
	s_or_b64 exec, exec, s[2:3]
	s_and_saveexec_b64 s[2:3], s[0:1]
	s_cbranch_execz .LBB19_32
; %bb.9:
	s_load_dwordx2 s[10:11], s[4:5], 0x18
	v_lshl_or_b32 v8, s6, 9, v0
	s_waitcnt lgkmcnt(0)
	v_cmp_gt_i32_e32 vcc, s11, v8
	s_and_b64 exec, exec, vcc
	s_cbranch_execz .LBB19_32
; %bb.10:
	s_load_dwordx4 s[0:3], s[4:5], 0x58
	v_ashrrev_i32_e32 v9, 31, v8
	v_lshlrev_b64 v[10:11], 2, v[8:9]
	s_waitcnt lgkmcnt(0)
	v_mov_b32_e32 v2, s1
	v_add_co_u32_e32 v12, vcc, s0, v10
	v_addc_co_u32_e32 v13, vcc, v2, v11, vcc
	global_load_dword v5, v[12:13], off
	v_mov_b32_e32 v2, s3
	v_add_co_u32_e32 v10, vcc, s2, v10
	v_addc_co_u32_e32 v11, vcc, v2, v11, vcc
	global_load_dword v2, v[10:11], off
	s_load_dwordx4 s[0:3], s[4:5], 0x0
	s_load_dwordx2 s[6:7], s[4:5], 0x30
	s_waitcnt lgkmcnt(0)
	s_cmp_eq_u32 s2, 1
	s_cselect_b64 s[14:15], -1, 0
	s_cmpk_eq_i32 s0, 0x6f
	s_cselect_b64 s[16:17], -1, 0
	s_cmpk_lg_i32 s0, 0x6f
	s_cselect_b64 s[18:19], -1, 0
	s_cmp_lg_u32 s2, 1
	s_waitcnt vmcnt(1)
	v_subrev_u32_e32 v12, s12, v5
	v_ashrrev_i32_e32 v13, 31, v12
	s_cbranch_scc0 .LBB19_16
; %bb.11:
	s_andn2_b64 vcc, exec, s[16:17]
	v_pk_mov_b32 v[10:11], v[12:13], v[12:13] op_sel:[0,1]
	s_cbranch_vccnz .LBB19_13
; %bb.12:
	v_mul_lo_u32 v5, v13, s6
	v_mul_lo_u32 v7, v12, s7
	v_mad_u64_u32 v[10:11], s[20:21], v12, s6, 0
	v_add3_u32 v11, v11, v7, v5
.LBB19_13:
	s_cbranch_execz .LBB19_17
	s_branch .LBB19_20
.LBB19_14:
	v_pk_mov_b32 v[2:3], s[2:3], s[2:3] op_sel:[0,1]
	flat_load_dword v3, v[2:3] offset:4
	s_and_b64 vcc, exec, s[0:1]
	s_waitcnt lgkmcnt(0)
	v_mov_b32_e32 v4, s10
	s_cbranch_vccnz .LBB19_4
.LBB19_15:
	v_pk_mov_b32 v[4:5], s[10:11], s[10:11] op_sel:[0,1]
	flat_load_dword v4, v[4:5]
	s_and_b64 vcc, exec, s[0:1]
	v_mov_b32_e32 v6, s11
	s_cbranch_vccz .LBB19_5
	s_branch .LBB19_6
.LBB19_16:
                                        ; implicit-def: $vgpr10_vgpr11
.LBB19_17:
	s_andn2_b64 vcc, exec, s[18:19]
	s_cbranch_vccnz .LBB19_19
; %bb.18:
	v_mul_lo_u32 v5, v13, s6
	v_mul_lo_u32 v7, v12, s7
	v_mad_u64_u32 v[12:13], s[18:19], v12, s6, 0
	v_add3_u32 v13, v13, v7, v5
.LBB19_19:
	v_pk_mov_b32 v[10:11], v[12:13], v[12:13] op_sel:[0,1]
.LBB19_20:
	s_cmp_eq_u32 s3, 1
	s_waitcnt vmcnt(0)
	v_subrev_u32_e32 v12, s12, v2
	s_cselect_b64 s[12:13], -1, 0
	s_cmpk_eq_i32 s1, 0x6f
	s_cselect_b64 s[18:19], -1, 0
	s_cmpk_lg_i32 s1, 0x6f
	s_cselect_b64 s[0:1], -1, 0
	s_cmp_lg_u32 s3, 1
	v_ashrrev_i32_e32 v13, 31, v12
	s_cbranch_scc0 .LBB19_24
; %bb.21:
	s_andn2_b64 vcc, exec, s[0:1]
	v_pk_mov_b32 v[14:15], v[12:13], v[12:13] op_sel:[0,1]
	s_cbranch_vccnz .LBB19_23
; %bb.22:
	v_mul_lo_u32 v2, v13, s8
	v_mul_lo_u32 v5, v12, s9
	v_mad_u64_u32 v[14:15], s[0:1], v12, s8, 0
	v_add3_u32 v15, v15, v5, v2
.LBB19_23:
	s_cbranch_execz .LBB19_25
	s_branch .LBB19_28
.LBB19_24:
                                        ; implicit-def: $vgpr14_vgpr15
.LBB19_25:
	s_andn2_b64 vcc, exec, s[18:19]
	s_cbranch_vccnz .LBB19_27
; %bb.26:
	v_mul_lo_u32 v2, v13, s8
	v_mul_lo_u32 v5, v12, s9
	v_mad_u64_u32 v[12:13], s[0:1], v12, s8, 0
	v_add3_u32 v13, v13, v5, v2
.LBB19_27:
	v_pk_mov_b32 v[14:15], v[12:13], v[12:13] op_sel:[0,1]
.LBB19_28:
	s_load_dwordx2 s[0:1], s[4:5], 0x50
	v_mov_b32_e32 v13, 0
	s_cmp_lt_i32 s10, 1
	v_mov_b32_e32 v12, v13
	s_cbranch_scc1 .LBB19_31
; %bb.29:
	s_load_dwordx2 s[2:3], s[4:5], 0x28
	s_load_dwordx2 s[20:21], s[4:5], 0x38
	v_lshlrev_b64 v[10:11], 3, v[10:11]
	v_lshlrev_b64 v[12:13], 3, v[14:15]
	s_waitcnt lgkmcnt(0)
	v_mov_b32_e32 v2, s3
	v_add_co_u32_e32 v10, vcc, s2, v10
	s_xor_b64 s[2:3], s[16:17], s[14:15]
	s_and_b64 s[2:3], s[2:3], exec
	s_cselect_b32 s4, 1, s6
	s_xor_b64 s[2:3], s[18:19], s[12:13]
	v_addc_co_u32_e32 v11, vcc, v2, v11, vcc
	s_and_b64 s[2:3], s[2:3], exec
	s_cselect_b32 s2, s8, 1
	v_mov_b32_e32 v2, s21
	v_add_co_u32_e32 v5, vcc, s20, v12
	v_addc_co_u32_e32 v2, vcc, v13, v2, vcc
	s_ashr_i32 s3, s2, 31
	s_ashr_i32 s5, s4, 31
	v_add_co_u32_e32 v14, vcc, 4, v5
	s_lshl_b64 s[2:3], s[2:3], 3
	s_lshl_b64 s[4:5], s[4:5], 3
	v_mov_b32_e32 v12, 0
	v_addc_co_u32_e32 v15, vcc, 0, v2, vcc
	v_mov_b32_e32 v2, s3
	v_mov_b32_e32 v5, s5
	;; [unrolled: 1-line block ×3, first 2 shown]
.LBB19_30:                              ; =>This Inner Loop Header: Depth=1
	global_load_dwordx2 v[16:17], v[10:11], off
	global_load_dwordx2 v[18:19], v[14:15], off offset:-4
	v_add_co_u32_e32 v14, vcc, s2, v14
	v_addc_co_u32_e32 v15, vcc, v15, v2, vcc
	s_add_i32 s10, s10, -1
	v_add_co_u32_e32 v10, vcc, s4, v10
	v_addc_co_u32_e32 v11, vcc, v11, v5, vcc
	s_cmp_eq_u32 s10, 0
	s_waitcnt vmcnt(0)
	v_pk_mul_f32 v[20:21], v[18:19], v[16:17] op_sel:[1,1] op_sel_hi:[1,0] neg_lo:[0,1]
	v_pk_fma_f32 v[16:17], v[16:17], v[18:19], v[20:21] op_sel_hi:[1,0,1]
	v_pk_add_f32 v[12:13], v[12:13], v[16:17]
	s_cbranch_scc0 .LBB19_30
.LBB19_31:
	v_lshlrev_b64 v[8:9], 3, v[8:9]
	s_waitcnt lgkmcnt(0)
	v_mov_b32_e32 v2, s1
	v_add_co_u32_e32 v8, vcc, s0, v8
	v_lshlrev_b32_e32 v0, 3, v0
	v_addc_co_u32_e32 v9, vcc, v2, v9, vcc
	ds_write_b64 v0, v[12:13]
	s_waitcnt lgkmcnt(0)
	s_barrier
	global_load_dwordx2 v[10:11], v[8:9], off
	ds_read_b64 v[12:13], v0
	v_xor_b32_e32 v15, 0x80000000, v3
	s_waitcnt lgkmcnt(0)
	v_mov_b32_e32 v7, v13
	v_mov_b32_e32 v5, v12
	s_waitcnt vmcnt(0)
	v_mov_b32_e32 v14, v10
	v_mov_b32_e32 v0, v11
	v_pk_mul_f32 v[12:13], v[6:7], v[14:15]
	v_pk_fma_f32 v[12:13], v[0:1], v[4:5], v[12:13]
	v_xor_b32_e32 v0, 0x80000000, v11
	v_mov_b32_e32 v2, v10
	v_pk_mul_f32 v[0:1], v[6:7], v[0:1]
	v_pk_fma_f32 v[0:1], v[2:3], v[4:5], v[0:1]
	v_pk_add_f32 v[0:1], v[12:13], v[0:1] op_sel:[0,1] op_sel_hi:[1,0]
	v_mov_b32_e32 v2, v1
	v_mov_b32_e32 v3, v0
	global_store_dwordx2 v[8:9], v[2:3], off
.LBB19_32:
	s_endpgm
	.section	.rodata,"a",@progbits
	.p2align	6, 0x0
	.amdhsa_kernel _ZN9rocsparseL17sddmm_coox_kernelILi512ELi1ELb0E21rocsparse_complex_numIfEiiS2_S2_S2_EEv20rocsparse_operation_S3_16rocsparse_order_S4_T4_S5_S5_T3_NS_24const_host_device_scalarIT2_EEPKT5_lPKT6_lS9_PT7_PKS6_SJ_21rocsparse_index_base_b
		.amdhsa_group_segment_fixed_size 4096
		.amdhsa_private_segment_fixed_size 0
		.amdhsa_kernarg_size 112
		.amdhsa_user_sgpr_count 6
		.amdhsa_user_sgpr_private_segment_buffer 1
		.amdhsa_user_sgpr_dispatch_ptr 0
		.amdhsa_user_sgpr_queue_ptr 0
		.amdhsa_user_sgpr_kernarg_segment_ptr 1
		.amdhsa_user_sgpr_dispatch_id 0
		.amdhsa_user_sgpr_flat_scratch_init 0
		.amdhsa_user_sgpr_kernarg_preload_length 0
		.amdhsa_user_sgpr_kernarg_preload_offset 0
		.amdhsa_user_sgpr_private_segment_size 0
		.amdhsa_uses_dynamic_stack 0
		.amdhsa_system_sgpr_private_segment_wavefront_offset 0
		.amdhsa_system_sgpr_workgroup_id_x 1
		.amdhsa_system_sgpr_workgroup_id_y 0
		.amdhsa_system_sgpr_workgroup_id_z 0
		.amdhsa_system_sgpr_workgroup_info 0
		.amdhsa_system_vgpr_workitem_id 0
		.amdhsa_next_free_vgpr 22
		.amdhsa_next_free_sgpr 22
		.amdhsa_accum_offset 24
		.amdhsa_reserve_vcc 1
		.amdhsa_reserve_flat_scratch 0
		.amdhsa_float_round_mode_32 0
		.amdhsa_float_round_mode_16_64 0
		.amdhsa_float_denorm_mode_32 3
		.amdhsa_float_denorm_mode_16_64 3
		.amdhsa_dx10_clamp 1
		.amdhsa_ieee_mode 1
		.amdhsa_fp16_overflow 0
		.amdhsa_tg_split 0
		.amdhsa_exception_fp_ieee_invalid_op 0
		.amdhsa_exception_fp_denorm_src 0
		.amdhsa_exception_fp_ieee_div_zero 0
		.amdhsa_exception_fp_ieee_overflow 0
		.amdhsa_exception_fp_ieee_underflow 0
		.amdhsa_exception_fp_ieee_inexact 0
		.amdhsa_exception_int_div_zero 0
	.end_amdhsa_kernel
	.section	.text._ZN9rocsparseL17sddmm_coox_kernelILi512ELi1ELb0E21rocsparse_complex_numIfEiiS2_S2_S2_EEv20rocsparse_operation_S3_16rocsparse_order_S4_T4_S5_S5_T3_NS_24const_host_device_scalarIT2_EEPKT5_lPKT6_lS9_PT7_PKS6_SJ_21rocsparse_index_base_b,"axG",@progbits,_ZN9rocsparseL17sddmm_coox_kernelILi512ELi1ELb0E21rocsparse_complex_numIfEiiS2_S2_S2_EEv20rocsparse_operation_S3_16rocsparse_order_S4_T4_S5_S5_T3_NS_24const_host_device_scalarIT2_EEPKT5_lPKT6_lS9_PT7_PKS6_SJ_21rocsparse_index_base_b,comdat
.Lfunc_end19:
	.size	_ZN9rocsparseL17sddmm_coox_kernelILi512ELi1ELb0E21rocsparse_complex_numIfEiiS2_S2_S2_EEv20rocsparse_operation_S3_16rocsparse_order_S4_T4_S5_S5_T3_NS_24const_host_device_scalarIT2_EEPKT5_lPKT6_lS9_PT7_PKS6_SJ_21rocsparse_index_base_b, .Lfunc_end19-_ZN9rocsparseL17sddmm_coox_kernelILi512ELi1ELb0E21rocsparse_complex_numIfEiiS2_S2_S2_EEv20rocsparse_operation_S3_16rocsparse_order_S4_T4_S5_S5_T3_NS_24const_host_device_scalarIT2_EEPKT5_lPKT6_lS9_PT7_PKS6_SJ_21rocsparse_index_base_b
                                        ; -- End function
	.section	.AMDGPU.csdata,"",@progbits
; Kernel info:
; codeLenInByte = 1068
; NumSgprs: 26
; NumVgprs: 22
; NumAgprs: 0
; TotalNumVgprs: 22
; ScratchSize: 0
; MemoryBound: 0
; FloatMode: 240
; IeeeMode: 1
; LDSByteSize: 4096 bytes/workgroup (compile time only)
; SGPRBlocks: 3
; VGPRBlocks: 2
; NumSGPRsForWavesPerEU: 26
; NumVGPRsForWavesPerEU: 22
; AccumOffset: 24
; Occupancy: 8
; WaveLimiterHint : 1
; COMPUTE_PGM_RSRC2:SCRATCH_EN: 0
; COMPUTE_PGM_RSRC2:USER_SGPR: 6
; COMPUTE_PGM_RSRC2:TRAP_HANDLER: 0
; COMPUTE_PGM_RSRC2:TGID_X_EN: 1
; COMPUTE_PGM_RSRC2:TGID_Y_EN: 0
; COMPUTE_PGM_RSRC2:TGID_Z_EN: 0
; COMPUTE_PGM_RSRC2:TIDIG_COMP_CNT: 0
; COMPUTE_PGM_RSRC3_GFX90A:ACCUM_OFFSET: 5
; COMPUTE_PGM_RSRC3_GFX90A:TG_SPLIT: 0
	.section	.text._ZN9rocsparseL24sddmm_coox_sample_kernelILi512ELb0E21rocsparse_complex_numIdEiiS2_EEvT3_S3_T2_PKT4_S3_PS5_PKS4_SA_21rocsparse_index_base_,"axG",@progbits,_ZN9rocsparseL24sddmm_coox_sample_kernelILi512ELb0E21rocsparse_complex_numIdEiiS2_EEvT3_S3_T2_PKT4_S3_PS5_PKS4_SA_21rocsparse_index_base_,comdat
	.globl	_ZN9rocsparseL24sddmm_coox_sample_kernelILi512ELb0E21rocsparse_complex_numIdEiiS2_EEvT3_S3_T2_PKT4_S3_PS5_PKS4_SA_21rocsparse_index_base_ ; -- Begin function _ZN9rocsparseL24sddmm_coox_sample_kernelILi512ELb0E21rocsparse_complex_numIdEiiS2_EEvT3_S3_T2_PKT4_S3_PS5_PKS4_SA_21rocsparse_index_base_
	.p2align	8
	.type	_ZN9rocsparseL24sddmm_coox_sample_kernelILi512ELb0E21rocsparse_complex_numIdEiiS2_EEvT3_S3_T2_PKT4_S3_PS5_PKS4_SA_21rocsparse_index_base_,@function
_ZN9rocsparseL24sddmm_coox_sample_kernelILi512ELb0E21rocsparse_complex_numIdEiiS2_EEvT3_S3_T2_PKT4_S3_PS5_PKS4_SA_21rocsparse_index_base_: ; @_ZN9rocsparseL24sddmm_coox_sample_kernelILi512ELb0E21rocsparse_complex_numIdEiiS2_EEvT3_S3_T2_PKT4_S3_PS5_PKS4_SA_21rocsparse_index_base_
; %bb.0:
	s_load_dword s10, s[4:5], 0x8
	v_lshl_or_b32 v0, s6, 9, v0
	s_waitcnt lgkmcnt(0)
	v_cmp_gt_u32_e32 vcc, s10, v0
	s_and_saveexec_b64 s[0:1], vcc
	s_cbranch_execz .LBB20_3
; %bb.1:
	s_load_dword s11, s[4:5], 0x38
	s_load_dword s13, s[4:5], 0x40
	s_load_dwordx4 s[0:3], s[4:5], 0x20
	s_load_dwordx2 s[6:7], s[4:5], 0x30
	s_load_dwordx2 s[8:9], s[4:5], 0x10
	s_load_dword s12, s[4:5], 0x18
	s_waitcnt lgkmcnt(0)
	s_lshl_b32 s13, s13, 9
	s_mov_b64 s[4:5], 0
	v_mov_b32_e32 v1, 0
	v_mov_b32_e32 v2, s3
	;; [unrolled: 1-line block ×5, first 2 shown]
.LBB20_2:                               ; =>This Inner Loop Header: Depth=1
	v_lshlrev_b64 v[6:7], 2, v[0:1]
	v_add_co_u32_e32 v8, vcc, s2, v6
	v_addc_co_u32_e32 v9, vcc, v2, v7, vcc
	v_add_co_u32_e32 v6, vcc, s6, v6
	v_addc_co_u32_e32 v7, vcc, v3, v7, vcc
	global_load_dword v10, v[8:9], off
	global_load_dword v11, v[6:7], off
	s_waitcnt vmcnt(1)
	v_subrev_u32_e32 v6, s11, v10
	s_waitcnt vmcnt(0)
	v_subrev_u32_e32 v7, s11, v11
	v_mad_u64_u32 v[6:7], s[14:15], v7, s12, v[6:7]
	v_ashrrev_i32_e32 v7, 31, v6
	v_lshlrev_b64 v[6:7], 4, v[6:7]
	v_add_co_u32_e32 v6, vcc, s8, v6
	v_addc_co_u32_e32 v7, vcc, v4, v7, vcc
	global_load_dwordx4 v[6:9], v[6:7], off
	v_lshlrev_b64 v[10:11], 4, v[0:1]
	v_add_co_u32_e32 v10, vcc, s0, v10
	v_add_u32_e32 v0, s13, v0
	v_addc_co_u32_e32 v11, vcc, v5, v11, vcc
	v_cmp_le_u32_e32 vcc, s10, v0
	s_or_b64 s[4:5], vcc, s[4:5]
	s_waitcnt vmcnt(0)
	global_store_dwordx4 v[10:11], v[6:9], off
	s_andn2_b64 exec, exec, s[4:5]
	s_cbranch_execnz .LBB20_2
.LBB20_3:
	s_endpgm
	.section	.rodata,"a",@progbits
	.p2align	6, 0x0
	.amdhsa_kernel _ZN9rocsparseL24sddmm_coox_sample_kernelILi512ELb0E21rocsparse_complex_numIdEiiS2_EEvT3_S3_T2_PKT4_S3_PS5_PKS4_SA_21rocsparse_index_base_
		.amdhsa_group_segment_fixed_size 0
		.amdhsa_private_segment_fixed_size 0
		.amdhsa_kernarg_size 320
		.amdhsa_user_sgpr_count 6
		.amdhsa_user_sgpr_private_segment_buffer 1
		.amdhsa_user_sgpr_dispatch_ptr 0
		.amdhsa_user_sgpr_queue_ptr 0
		.amdhsa_user_sgpr_kernarg_segment_ptr 1
		.amdhsa_user_sgpr_dispatch_id 0
		.amdhsa_user_sgpr_flat_scratch_init 0
		.amdhsa_user_sgpr_kernarg_preload_length 0
		.amdhsa_user_sgpr_kernarg_preload_offset 0
		.amdhsa_user_sgpr_private_segment_size 0
		.amdhsa_uses_dynamic_stack 0
		.amdhsa_system_sgpr_private_segment_wavefront_offset 0
		.amdhsa_system_sgpr_workgroup_id_x 1
		.amdhsa_system_sgpr_workgroup_id_y 0
		.amdhsa_system_sgpr_workgroup_id_z 0
		.amdhsa_system_sgpr_workgroup_info 0
		.amdhsa_system_vgpr_workitem_id 0
		.amdhsa_next_free_vgpr 12
		.amdhsa_next_free_sgpr 16
		.amdhsa_accum_offset 12
		.amdhsa_reserve_vcc 1
		.amdhsa_reserve_flat_scratch 0
		.amdhsa_float_round_mode_32 0
		.amdhsa_float_round_mode_16_64 0
		.amdhsa_float_denorm_mode_32 3
		.amdhsa_float_denorm_mode_16_64 3
		.amdhsa_dx10_clamp 1
		.amdhsa_ieee_mode 1
		.amdhsa_fp16_overflow 0
		.amdhsa_tg_split 0
		.amdhsa_exception_fp_ieee_invalid_op 0
		.amdhsa_exception_fp_denorm_src 0
		.amdhsa_exception_fp_ieee_div_zero 0
		.amdhsa_exception_fp_ieee_overflow 0
		.amdhsa_exception_fp_ieee_underflow 0
		.amdhsa_exception_fp_ieee_inexact 0
		.amdhsa_exception_int_div_zero 0
	.end_amdhsa_kernel
	.section	.text._ZN9rocsparseL24sddmm_coox_sample_kernelILi512ELb0E21rocsparse_complex_numIdEiiS2_EEvT3_S3_T2_PKT4_S3_PS5_PKS4_SA_21rocsparse_index_base_,"axG",@progbits,_ZN9rocsparseL24sddmm_coox_sample_kernelILi512ELb0E21rocsparse_complex_numIdEiiS2_EEvT3_S3_T2_PKT4_S3_PS5_PKS4_SA_21rocsparse_index_base_,comdat
.Lfunc_end20:
	.size	_ZN9rocsparseL24sddmm_coox_sample_kernelILi512ELb0E21rocsparse_complex_numIdEiiS2_EEvT3_S3_T2_PKT4_S3_PS5_PKS4_SA_21rocsparse_index_base_, .Lfunc_end20-_ZN9rocsparseL24sddmm_coox_sample_kernelILi512ELb0E21rocsparse_complex_numIdEiiS2_EEvT3_S3_T2_PKT4_S3_PS5_PKS4_SA_21rocsparse_index_base_
                                        ; -- End function
	.section	.AMDGPU.csdata,"",@progbits
; Kernel info:
; codeLenInByte = 256
; NumSgprs: 20
; NumVgprs: 12
; NumAgprs: 0
; TotalNumVgprs: 12
; ScratchSize: 0
; MemoryBound: 0
; FloatMode: 240
; IeeeMode: 1
; LDSByteSize: 0 bytes/workgroup (compile time only)
; SGPRBlocks: 2
; VGPRBlocks: 1
; NumSGPRsForWavesPerEU: 20
; NumVGPRsForWavesPerEU: 12
; AccumOffset: 12
; Occupancy: 8
; WaveLimiterHint : 0
; COMPUTE_PGM_RSRC2:SCRATCH_EN: 0
; COMPUTE_PGM_RSRC2:USER_SGPR: 6
; COMPUTE_PGM_RSRC2:TRAP_HANDLER: 0
; COMPUTE_PGM_RSRC2:TGID_X_EN: 1
; COMPUTE_PGM_RSRC2:TGID_Y_EN: 0
; COMPUTE_PGM_RSRC2:TGID_Z_EN: 0
; COMPUTE_PGM_RSRC2:TIDIG_COMP_CNT: 0
; COMPUTE_PGM_RSRC3_GFX90A:ACCUM_OFFSET: 2
; COMPUTE_PGM_RSRC3_GFX90A:TG_SPLIT: 0
	.section	.text._ZN9rocsparseL17sddmm_coox_kernelILi512ELi8ELb0E21rocsparse_complex_numIdEiiS2_S2_S2_EEv20rocsparse_operation_S3_16rocsparse_order_S4_T4_S5_S5_T3_NS_24const_host_device_scalarIT2_EEPKT5_lPKT6_lS9_PT7_PKS6_SJ_21rocsparse_index_base_b,"axG",@progbits,_ZN9rocsparseL17sddmm_coox_kernelILi512ELi8ELb0E21rocsparse_complex_numIdEiiS2_S2_S2_EEv20rocsparse_operation_S3_16rocsparse_order_S4_T4_S5_S5_T3_NS_24const_host_device_scalarIT2_EEPKT5_lPKT6_lS9_PT7_PKS6_SJ_21rocsparse_index_base_b,comdat
	.globl	_ZN9rocsparseL17sddmm_coox_kernelILi512ELi8ELb0E21rocsparse_complex_numIdEiiS2_S2_S2_EEv20rocsparse_operation_S3_16rocsparse_order_S4_T4_S5_S5_T3_NS_24const_host_device_scalarIT2_EEPKT5_lPKT6_lS9_PT7_PKS6_SJ_21rocsparse_index_base_b ; -- Begin function _ZN9rocsparseL17sddmm_coox_kernelILi512ELi8ELb0E21rocsparse_complex_numIdEiiS2_S2_S2_EEv20rocsparse_operation_S3_16rocsparse_order_S4_T4_S5_S5_T3_NS_24const_host_device_scalarIT2_EEPKT5_lPKT6_lS9_PT7_PKS6_SJ_21rocsparse_index_base_b
	.p2align	8
	.type	_ZN9rocsparseL17sddmm_coox_kernelILi512ELi8ELb0E21rocsparse_complex_numIdEiiS2_S2_S2_EEv20rocsparse_operation_S3_16rocsparse_order_S4_T4_S5_S5_T3_NS_24const_host_device_scalarIT2_EEPKT5_lPKT6_lS9_PT7_PKS6_SJ_21rocsparse_index_base_b,@function
_ZN9rocsparseL17sddmm_coox_kernelILi512ELi8ELb0E21rocsparse_complex_numIdEiiS2_S2_S2_EEv20rocsparse_operation_S3_16rocsparse_order_S4_T4_S5_S5_T3_NS_24const_host_device_scalarIT2_EEPKT5_lPKT6_lS9_PT7_PKS6_SJ_21rocsparse_index_base_b: ; @_ZN9rocsparseL17sddmm_coox_kernelILi512ELi8ELb0E21rocsparse_complex_numIdEiiS2_S2_S2_EEv20rocsparse_operation_S3_16rocsparse_order_S4_T4_S5_S5_T3_NS_24const_host_device_scalarIT2_EEPKT5_lPKT6_lS9_PT7_PKS6_SJ_21rocsparse_index_base_b
; %bb.0:
	s_load_dwordx2 s[10:11], s[6:7], 0x78
	s_load_dwordx4 s[16:19], s[6:7], 0x20
	s_load_dwordx4 s[12:15], s[6:7], 0x48
	s_mov_b64 s[2:3], src_shared_base
	s_load_dwordx2 s[4:5], s[4:5], 0x4
	s_waitcnt lgkmcnt(0)
	s_bitcmp1_b32 s11, 0
	s_cselect_b64 s[0:1], -1, 0
	s_and_b64 vcc, s[0:1], exec
	s_cselect_b32 s2, s3, s17
	s_lshr_b32 s4, s4, 16
	v_and_b32_e32 v2, 0x3ff, v0
	s_mul_i32 s4, s4, s5
	v_mul_lo_u32 v1, s4, v2
	v_bfe_u32 v4, v0, 10, 10
	v_mad_u32_u24 v1, v4, s5, v1
	v_bfe_u32 v0, v0, 20, 10
	v_add_lshl_u32 v6, v1, v0, 3
	v_mov_b32_e32 v3, s16
	v_add_u32_e32 v7, 0x3000, v6
	v_pk_mov_b32 v[0:1], s[16:17], s[16:17] op_sel:[0,1]
	v_pk_mov_b32 v[4:5], s[14:15], s[14:15] op_sel:[0,1]
	ds_write2st64_b64 v6, v[4:5], v[0:1] offset0:16 offset1:24
	v_cndmask_b32_e64 v0, v3, v7, s[0:1]
	v_mov_b32_e32 v1, s2
	flat_load_dwordx2 v[4:5], v[0:1]
	s_load_dwordx2 s[4:5], s[6:7], 0x58
	s_xor_b64 s[20:21], s[0:1], -1
	v_add_u32_e32 v0, 0x2000, v6
	v_pk_mov_b32 v[6:7], s[18:19], s[18:19] op_sel:[0,1]
	s_cbranch_vccnz .LBB21_2
; %bb.1:
	v_pk_mov_b32 v[6:7], s[16:17], s[16:17] op_sel:[0,1]
	flat_load_dwordx2 v[6:7], v[6:7] offset:8
.LBB21_2:
	s_and_b64 s[16:17], s[0:1], exec
	s_cselect_b32 s2, s3, s15
	v_mov_b32_e32 v1, s14
	v_cndmask_b32_e64 v0, v1, v0, s[0:1]
	v_mov_b32_e32 v1, s2
	flat_load_dwordx2 v[8:9], v[0:1]
	s_andn2_b64 vcc, exec, s[20:21]
	s_waitcnt lgkmcnt(0)
	v_pk_mov_b32 v[10:11], s[4:5], s[4:5] op_sel:[0,1]
	s_cbranch_vccnz .LBB21_4
; %bb.3:
	v_pk_mov_b32 v[0:1], s[14:15], s[14:15] op_sel:[0,1]
	flat_load_dwordx2 v[10:11], v[0:1] offset:8
.LBB21_4:
	s_waitcnt vmcnt(0)
	v_cmp_eq_f64_e32 vcc, 0, v[4:5]
	v_cmp_eq_f64_e64 s[0:1], 0, v[6:7]
	s_and_b64 s[4:5], vcc, s[0:1]
	s_mov_b64 s[0:1], -1
	s_and_saveexec_b64 s[2:3], s[4:5]
	s_cbranch_execz .LBB21_6
; %bb.5:
	v_cmp_neq_f64_e32 vcc, 1.0, v[8:9]
	s_waitcnt lgkmcnt(0)
	v_cmp_neq_f64_e64 s[0:1], 0, v[10:11]
	s_or_b64 s[0:1], vcc, s[0:1]
	s_orn2_b64 s[0:1], s[0:1], exec
.LBB21_6:
	s_or_b64 exec, exec, s[2:3]
	s_and_saveexec_b64 s[2:3], s[0:1]
	s_cbranch_execz .LBB21_36
; %bb.7:
	s_load_dwordx2 s[4:5], s[6:7], 0x18
	v_lshrrev_b32_e32 v18, 3, v2
	v_lshl_or_b32 v12, s8, 6, v18
	s_waitcnt lgkmcnt(0)
	v_cmp_gt_i32_e32 vcc, s5, v12
	s_and_b64 exec, exec, vcc
	s_cbranch_execz .LBB21_36
; %bb.8:
	s_load_dwordx4 s[0:3], s[6:7], 0x68
	v_ashrrev_i32_e32 v13, 31, v12
	v_lshlrev_b64 v[0:1], 2, v[12:13]
	s_waitcnt lgkmcnt(0)
	v_mov_b32_e32 v3, s1
	v_add_co_u32_e32 v14, vcc, s0, v0
	v_addc_co_u32_e32 v15, vcc, v3, v1, vcc
	global_load_dword v14, v[14:15], off
	v_mov_b32_e32 v3, s3
	v_add_co_u32_e32 v0, vcc, s2, v0
	v_addc_co_u32_e32 v1, vcc, v3, v1, vcc
	global_load_dword v3, v[0:1], off
	s_load_dwordx4 s[0:3], s[6:7], 0x0
	s_load_dwordx2 s[8:9], s[6:7], 0x38
	s_waitcnt lgkmcnt(0)
	s_cmp_eq_u32 s2, 1
	s_cselect_b64 s[14:15], -1, 0
	s_cmpk_eq_i32 s0, 0x6f
	s_cselect_b64 s[16:17], -1, 0
	s_cmpk_lg_i32 s0, 0x6f
	s_cselect_b64 s[18:19], -1, 0
	s_cmp_lg_u32 s2, 1
	s_waitcnt vmcnt(1)
	v_subrev_u32_e32 v0, s10, v14
	v_ashrrev_i32_e32 v1, 31, v0
	s_cbranch_scc0 .LBB21_12
; %bb.9:
	s_andn2_b64 vcc, exec, s[16:17]
	v_pk_mov_b32 v[14:15], v[0:1], v[0:1] op_sel:[0,1]
	s_cbranch_vccnz .LBB21_11
; %bb.10:
	v_mul_lo_u32 v16, v1, s8
	v_mul_lo_u32 v17, v0, s9
	v_mad_u64_u32 v[14:15], s[20:21], v0, s8, 0
	v_add3_u32 v15, v15, v17, v16
.LBB21_11:
	s_cbranch_execz .LBB21_13
	s_branch .LBB21_16
.LBB21_12:
                                        ; implicit-def: $vgpr14_vgpr15
.LBB21_13:
	s_andn2_b64 vcc, exec, s[18:19]
	s_cbranch_vccnz .LBB21_15
; %bb.14:
	v_mul_lo_u32 v14, v1, s8
	v_mul_lo_u32 v15, v0, s9
	v_mad_u64_u32 v[0:1], s[18:19], v0, s8, 0
	v_add3_u32 v1, v1, v15, v14
.LBB21_15:
	v_pk_mov_b32 v[14:15], v[0:1], v[0:1] op_sel:[0,1]
.LBB21_16:
	s_cmp_eq_u32 s3, 1
	s_waitcnt vmcnt(0)
	v_subrev_u32_e32 v0, s10, v3
	s_cselect_b64 s[10:11], -1, 0
	s_cmpk_eq_i32 s1, 0x6f
	s_cselect_b64 s[18:19], -1, 0
	s_cmpk_lg_i32 s1, 0x6f
	s_cselect_b64 s[0:1], -1, 0
	s_cmp_lg_u32 s3, 1
	v_ashrrev_i32_e32 v1, 31, v0
	s_cbranch_scc0 .LBB21_20
; %bb.17:
	s_andn2_b64 vcc, exec, s[0:1]
	v_pk_mov_b32 v[16:17], v[0:1], v[0:1] op_sel:[0,1]
	s_cbranch_vccnz .LBB21_19
; %bb.18:
	v_mul_lo_u32 v3, v1, s12
	v_mul_lo_u32 v19, v0, s13
	v_mad_u64_u32 v[16:17], s[0:1], v0, s12, 0
	v_add3_u32 v17, v17, v19, v3
.LBB21_19:
	s_cbranch_execz .LBB21_21
	s_branch .LBB21_24
.LBB21_20:
                                        ; implicit-def: $vgpr16_vgpr17
.LBB21_21:
	s_andn2_b64 vcc, exec, s[18:19]
	s_cbranch_vccnz .LBB21_23
; %bb.22:
	v_mul_lo_u32 v3, v1, s12
	v_mul_lo_u32 v16, v0, s13
	v_mad_u64_u32 v[0:1], s[0:1], v0, s12, 0
	v_add3_u32 v1, v1, v16, v3
.LBB21_23:
	v_pk_mov_b32 v[16:17], v[0:1], v[0:1] op_sel:[0,1]
.LBB21_24:
	s_load_dwordx2 s[0:1], s[6:7], 0x60
	v_and_b32_e32 v19, 7, v2
	v_pk_mov_b32 v[2:3], 0, 0
	v_cmp_gt_i32_e32 vcc, s4, v19
	v_pk_mov_b32 v[0:1], v[2:3], v[2:3] op_sel:[0,1]
	s_and_saveexec_b64 s[2:3], vcc
	s_cbranch_execz .LBB21_28
; %bb.25:
	s_load_dwordx2 s[20:21], s[6:7], 0x40
	s_load_dwordx2 s[22:23], s[6:7], 0x30
	v_lshlrev_b64 v[0:1], 4, v[16:17]
	s_xor_b64 s[6:7], s[16:17], s[14:15]
	s_and_b64 s[6:7], s[6:7], exec
	s_waitcnt lgkmcnt(0)
	v_mov_b32_e32 v2, s21
	v_add_co_u32_e32 v20, vcc, s20, v0
	v_addc_co_u32_e32 v21, vcc, v2, v1, vcc
	v_lshlrev_b64 v[0:1], 4, v[14:15]
	s_cselect_b32 s8, 1, s8
	s_xor_b64 s[6:7], s[18:19], s[10:11]
	v_mov_b32_e32 v2, s23
	v_add_co_u32_e32 v22, vcc, s22, v0
	s_and_b64 s[6:7], s[6:7], exec
	v_addc_co_u32_e32 v23, vcc, v2, v1, vcc
	s_cselect_b32 s5, s12, 1
	v_pk_mov_b32 v[2:3], 0, 0
	v_mul_lo_u32 v14, s5, v19
	s_lshl_b32 s5, s5, 3
	v_mul_lo_u32 v16, s8, v19
	s_lshl_b32 s8, s8, 3
	s_mov_b64 s[6:7], 0
	v_mov_b32_e32 v24, v19
	v_pk_mov_b32 v[0:1], v[2:3], v[2:3] op_sel:[0,1]
.LBB21_26:                              ; =>This Inner Loop Header: Depth=1
	v_ashrrev_i32_e32 v17, 31, v16
	v_lshlrev_b64 v[26:27], 4, v[16:17]
	v_add_co_u32_e32 v34, vcc, v22, v26
	v_ashrrev_i32_e32 v15, 31, v14
	v_addc_co_u32_e32 v35, vcc, v23, v27, vcc
	v_lshlrev_b64 v[26:27], 4, v[14:15]
	v_add_co_u32_e32 v36, vcc, v20, v26
	v_addc_co_u32_e32 v37, vcc, v21, v27, vcc
	global_load_dwordx4 v[26:29], v[36:37], off
	global_load_dwordx4 v[30:33], v[34:35], off
	v_add_u32_e32 v24, 8, v24
	v_cmp_le_i32_e32 vcc, s4, v24
	v_add_u32_e32 v14, s5, v14
	s_or_b64 s[6:7], vcc, s[6:7]
	v_add_u32_e32 v16, s8, v16
	s_waitcnt vmcnt(0)
	v_mul_f64 v[34:35], v[28:29], -v[32:33]
	v_mul_f64 v[28:29], v[28:29], v[30:31]
	v_fmac_f64_e32 v[34:35], v[30:31], v[26:27]
	v_fmac_f64_e32 v[28:29], v[32:33], v[26:27]
	v_add_f64 v[0:1], v[0:1], v[34:35]
	v_add_f64 v[2:3], v[2:3], v[28:29]
	s_andn2_b64 exec, exec, s[6:7]
	s_cbranch_execnz .LBB21_26
; %bb.27:
	s_or_b64 exec, exec, s[6:7]
.LBB21_28:
	s_or_b64 exec, exec, s[2:3]
	v_lshlrev_b32_e32 v14, 4, v19
	v_lshl_or_b32 v14, v18, 7, v14
	v_cmp_gt_u32_e32 vcc, 4, v19
	ds_write_b128 v14, v[0:3]
	s_waitcnt lgkmcnt(0)
	s_barrier
	s_and_saveexec_b64 s[2:3], vcc
	s_cbranch_execz .LBB21_30
; %bb.29:
	ds_read_b128 v[0:3], v14 offset:64
	ds_read_b128 v[20:23], v14
	s_waitcnt lgkmcnt(0)
	v_add_f64 v[0:1], v[0:1], v[20:21]
	v_add_f64 v[2:3], v[2:3], v[22:23]
	ds_write_b128 v14, v[0:3]
.LBB21_30:
	s_or_b64 exec, exec, s[2:3]
	v_cmp_gt_u32_e32 vcc, 2, v19
	s_waitcnt lgkmcnt(0)
	s_barrier
	s_and_saveexec_b64 s[2:3], vcc
	s_cbranch_execz .LBB21_32
; %bb.31:
	ds_read_b128 v[0:3], v14
	ds_read_b128 v[20:23], v14 offset:32
	s_waitcnt lgkmcnt(0)
	v_add_f64 v[0:1], v[20:21], v[0:1]
	v_add_f64 v[2:3], v[22:23], v[2:3]
	ds_write_b128 v14, v[0:3]
.LBB21_32:
	s_or_b64 exec, exec, s[2:3]
	v_cmp_eq_u32_e32 vcc, 0, v19
	v_lshlrev_b32_e32 v0, 7, v18
	s_waitcnt lgkmcnt(0)
	s_barrier
	s_and_saveexec_b64 s[2:3], vcc
	s_cbranch_execz .LBB21_34
; %bb.33:
	ds_read_b128 v[16:19], v0 offset:16
	ds_read_b128 v[20:23], v14
	s_waitcnt lgkmcnt(0)
	v_add_f64 v[16:17], v[16:17], v[20:21]
	v_add_f64 v[18:19], v[18:19], v[22:23]
	ds_write_b128 v14, v[16:19]
.LBB21_34:
	s_or_b64 exec, exec, s[2:3]
	s_waitcnt lgkmcnt(0)
	s_barrier
	s_and_b64 exec, exec, vcc
	s_cbranch_execz .LBB21_36
; %bb.35:
	v_lshlrev_b64 v[2:3], 4, v[12:13]
	v_mov_b32_e32 v1, s1
	v_add_co_u32_e32 v16, vcc, s0, v2
	v_addc_co_u32_e32 v17, vcc, v1, v3, vcc
	global_load_dwordx4 v[12:15], v[16:17], off
	ds_read_b128 v[0:3], v0
	s_waitcnt lgkmcnt(0)
	v_mul_f64 v[18:19], v[2:3], -v[6:7]
	v_mul_f64 v[2:3], v[4:5], v[2:3]
	v_fmac_f64_e32 v[18:19], v[4:5], v[0:1]
	v_fmac_f64_e32 v[2:3], v[6:7], v[0:1]
	s_waitcnt vmcnt(0)
	v_mul_f64 v[0:1], v[10:11], -v[14:15]
	v_mul_f64 v[4:5], v[10:11], v[12:13]
	v_fmac_f64_e32 v[0:1], v[12:13], v[8:9]
	v_fmac_f64_e32 v[4:5], v[14:15], v[8:9]
	v_add_f64 v[0:1], v[0:1], v[18:19]
	v_add_f64 v[2:3], v[4:5], v[2:3]
	global_store_dwordx4 v[16:17], v[0:3], off
.LBB21_36:
	s_endpgm
	.section	.rodata,"a",@progbits
	.p2align	6, 0x0
	.amdhsa_kernel _ZN9rocsparseL17sddmm_coox_kernelILi512ELi8ELb0E21rocsparse_complex_numIdEiiS2_S2_S2_EEv20rocsparse_operation_S3_16rocsparse_order_S4_T4_S5_S5_T3_NS_24const_host_device_scalarIT2_EEPKT5_lPKT6_lS9_PT7_PKS6_SJ_21rocsparse_index_base_b
		.amdhsa_group_segment_fixed_size 16384
		.amdhsa_private_segment_fixed_size 0
		.amdhsa_kernarg_size 128
		.amdhsa_user_sgpr_count 8
		.amdhsa_user_sgpr_private_segment_buffer 1
		.amdhsa_user_sgpr_dispatch_ptr 1
		.amdhsa_user_sgpr_queue_ptr 0
		.amdhsa_user_sgpr_kernarg_segment_ptr 1
		.amdhsa_user_sgpr_dispatch_id 0
		.amdhsa_user_sgpr_flat_scratch_init 0
		.amdhsa_user_sgpr_kernarg_preload_length 0
		.amdhsa_user_sgpr_kernarg_preload_offset 0
		.amdhsa_user_sgpr_private_segment_size 0
		.amdhsa_uses_dynamic_stack 0
		.amdhsa_system_sgpr_private_segment_wavefront_offset 0
		.amdhsa_system_sgpr_workgroup_id_x 1
		.amdhsa_system_sgpr_workgroup_id_y 0
		.amdhsa_system_sgpr_workgroup_id_z 0
		.amdhsa_system_sgpr_workgroup_info 0
		.amdhsa_system_vgpr_workitem_id 2
		.amdhsa_next_free_vgpr 38
		.amdhsa_next_free_sgpr 24
		.amdhsa_accum_offset 40
		.amdhsa_reserve_vcc 1
		.amdhsa_reserve_flat_scratch 0
		.amdhsa_float_round_mode_32 0
		.amdhsa_float_round_mode_16_64 0
		.amdhsa_float_denorm_mode_32 3
		.amdhsa_float_denorm_mode_16_64 3
		.amdhsa_dx10_clamp 1
		.amdhsa_ieee_mode 1
		.amdhsa_fp16_overflow 0
		.amdhsa_tg_split 0
		.amdhsa_exception_fp_ieee_invalid_op 0
		.amdhsa_exception_fp_denorm_src 0
		.amdhsa_exception_fp_ieee_div_zero 0
		.amdhsa_exception_fp_ieee_overflow 0
		.amdhsa_exception_fp_ieee_underflow 0
		.amdhsa_exception_fp_ieee_inexact 0
		.amdhsa_exception_int_div_zero 0
	.end_amdhsa_kernel
	.section	.text._ZN9rocsparseL17sddmm_coox_kernelILi512ELi8ELb0E21rocsparse_complex_numIdEiiS2_S2_S2_EEv20rocsparse_operation_S3_16rocsparse_order_S4_T4_S5_S5_T3_NS_24const_host_device_scalarIT2_EEPKT5_lPKT6_lS9_PT7_PKS6_SJ_21rocsparse_index_base_b,"axG",@progbits,_ZN9rocsparseL17sddmm_coox_kernelILi512ELi8ELb0E21rocsparse_complex_numIdEiiS2_S2_S2_EEv20rocsparse_operation_S3_16rocsparse_order_S4_T4_S5_S5_T3_NS_24const_host_device_scalarIT2_EEPKT5_lPKT6_lS9_PT7_PKS6_SJ_21rocsparse_index_base_b,comdat
.Lfunc_end21:
	.size	_ZN9rocsparseL17sddmm_coox_kernelILi512ELi8ELb0E21rocsparse_complex_numIdEiiS2_S2_S2_EEv20rocsparse_operation_S3_16rocsparse_order_S4_T4_S5_S5_T3_NS_24const_host_device_scalarIT2_EEPKT5_lPKT6_lS9_PT7_PKS6_SJ_21rocsparse_index_base_b, .Lfunc_end21-_ZN9rocsparseL17sddmm_coox_kernelILi512ELi8ELb0E21rocsparse_complex_numIdEiiS2_S2_S2_EEv20rocsparse_operation_S3_16rocsparse_order_S4_T4_S5_S5_T3_NS_24const_host_device_scalarIT2_EEPKT5_lPKT6_lS9_PT7_PKS6_SJ_21rocsparse_index_base_b
                                        ; -- End function
	.section	.AMDGPU.csdata,"",@progbits
; Kernel info:
; codeLenInByte = 1440
; NumSgprs: 28
; NumVgprs: 38
; NumAgprs: 0
; TotalNumVgprs: 38
; ScratchSize: 0
; MemoryBound: 0
; FloatMode: 240
; IeeeMode: 1
; LDSByteSize: 16384 bytes/workgroup (compile time only)
; SGPRBlocks: 3
; VGPRBlocks: 4
; NumSGPRsForWavesPerEU: 28
; NumVGPRsForWavesPerEU: 38
; AccumOffset: 40
; Occupancy: 8
; WaveLimiterHint : 0
; COMPUTE_PGM_RSRC2:SCRATCH_EN: 0
; COMPUTE_PGM_RSRC2:USER_SGPR: 8
; COMPUTE_PGM_RSRC2:TRAP_HANDLER: 0
; COMPUTE_PGM_RSRC2:TGID_X_EN: 1
; COMPUTE_PGM_RSRC2:TGID_Y_EN: 0
; COMPUTE_PGM_RSRC2:TGID_Z_EN: 0
; COMPUTE_PGM_RSRC2:TIDIG_COMP_CNT: 2
; COMPUTE_PGM_RSRC3_GFX90A:ACCUM_OFFSET: 9
; COMPUTE_PGM_RSRC3_GFX90A:TG_SPLIT: 0
	.section	.text._ZN9rocsparseL17sddmm_coox_kernelILi512ELi4ELb0E21rocsparse_complex_numIdEiiS2_S2_S2_EEv20rocsparse_operation_S3_16rocsparse_order_S4_T4_S5_S5_T3_NS_24const_host_device_scalarIT2_EEPKT5_lPKT6_lS9_PT7_PKS6_SJ_21rocsparse_index_base_b,"axG",@progbits,_ZN9rocsparseL17sddmm_coox_kernelILi512ELi4ELb0E21rocsparse_complex_numIdEiiS2_S2_S2_EEv20rocsparse_operation_S3_16rocsparse_order_S4_T4_S5_S5_T3_NS_24const_host_device_scalarIT2_EEPKT5_lPKT6_lS9_PT7_PKS6_SJ_21rocsparse_index_base_b,comdat
	.globl	_ZN9rocsparseL17sddmm_coox_kernelILi512ELi4ELb0E21rocsparse_complex_numIdEiiS2_S2_S2_EEv20rocsparse_operation_S3_16rocsparse_order_S4_T4_S5_S5_T3_NS_24const_host_device_scalarIT2_EEPKT5_lPKT6_lS9_PT7_PKS6_SJ_21rocsparse_index_base_b ; -- Begin function _ZN9rocsparseL17sddmm_coox_kernelILi512ELi4ELb0E21rocsparse_complex_numIdEiiS2_S2_S2_EEv20rocsparse_operation_S3_16rocsparse_order_S4_T4_S5_S5_T3_NS_24const_host_device_scalarIT2_EEPKT5_lPKT6_lS9_PT7_PKS6_SJ_21rocsparse_index_base_b
	.p2align	8
	.type	_ZN9rocsparseL17sddmm_coox_kernelILi512ELi4ELb0E21rocsparse_complex_numIdEiiS2_S2_S2_EEv20rocsparse_operation_S3_16rocsparse_order_S4_T4_S5_S5_T3_NS_24const_host_device_scalarIT2_EEPKT5_lPKT6_lS9_PT7_PKS6_SJ_21rocsparse_index_base_b,@function
_ZN9rocsparseL17sddmm_coox_kernelILi512ELi4ELb0E21rocsparse_complex_numIdEiiS2_S2_S2_EEv20rocsparse_operation_S3_16rocsparse_order_S4_T4_S5_S5_T3_NS_24const_host_device_scalarIT2_EEPKT5_lPKT6_lS9_PT7_PKS6_SJ_21rocsparse_index_base_b: ; @_ZN9rocsparseL17sddmm_coox_kernelILi512ELi4ELb0E21rocsparse_complex_numIdEiiS2_S2_S2_EEv20rocsparse_operation_S3_16rocsparse_order_S4_T4_S5_S5_T3_NS_24const_host_device_scalarIT2_EEPKT5_lPKT6_lS9_PT7_PKS6_SJ_21rocsparse_index_base_b
; %bb.0:
	s_load_dwordx2 s[10:11], s[6:7], 0x78
	s_load_dwordx4 s[16:19], s[6:7], 0x20
	s_load_dwordx4 s[12:15], s[6:7], 0x48
	s_mov_b64 s[2:3], src_shared_base
	s_load_dwordx2 s[4:5], s[4:5], 0x4
	s_waitcnt lgkmcnt(0)
	s_bitcmp1_b32 s11, 0
	s_cselect_b64 s[0:1], -1, 0
	s_and_b64 vcc, s[0:1], exec
	s_cselect_b32 s2, s3, s17
	s_lshr_b32 s4, s4, 16
	v_and_b32_e32 v2, 0x3ff, v0
	s_mul_i32 s4, s4, s5
	v_mul_lo_u32 v1, s4, v2
	v_bfe_u32 v4, v0, 10, 10
	v_mad_u32_u24 v1, v4, s5, v1
	v_bfe_u32 v0, v0, 20, 10
	v_add_lshl_u32 v6, v1, v0, 3
	v_mov_b32_e32 v3, s16
	v_add_u32_e32 v7, 0x3000, v6
	v_pk_mov_b32 v[0:1], s[16:17], s[16:17] op_sel:[0,1]
	v_pk_mov_b32 v[4:5], s[14:15], s[14:15] op_sel:[0,1]
	ds_write2st64_b64 v6, v[4:5], v[0:1] offset0:16 offset1:24
	v_cndmask_b32_e64 v0, v3, v7, s[0:1]
	v_mov_b32_e32 v1, s2
	flat_load_dwordx2 v[4:5], v[0:1]
	s_load_dwordx2 s[4:5], s[6:7], 0x58
	s_xor_b64 s[20:21], s[0:1], -1
	v_add_u32_e32 v0, 0x2000, v6
	v_pk_mov_b32 v[6:7], s[18:19], s[18:19] op_sel:[0,1]
	s_cbranch_vccnz .LBB22_2
; %bb.1:
	v_pk_mov_b32 v[6:7], s[16:17], s[16:17] op_sel:[0,1]
	flat_load_dwordx2 v[6:7], v[6:7] offset:8
.LBB22_2:
	s_and_b64 s[16:17], s[0:1], exec
	s_cselect_b32 s2, s3, s15
	v_mov_b32_e32 v1, s14
	v_cndmask_b32_e64 v0, v1, v0, s[0:1]
	v_mov_b32_e32 v1, s2
	flat_load_dwordx2 v[8:9], v[0:1]
	s_andn2_b64 vcc, exec, s[20:21]
	s_waitcnt lgkmcnt(0)
	v_pk_mov_b32 v[10:11], s[4:5], s[4:5] op_sel:[0,1]
	s_cbranch_vccnz .LBB22_4
; %bb.3:
	v_pk_mov_b32 v[0:1], s[14:15], s[14:15] op_sel:[0,1]
	flat_load_dwordx2 v[10:11], v[0:1] offset:8
.LBB22_4:
	s_waitcnt vmcnt(0)
	v_cmp_eq_f64_e32 vcc, 0, v[4:5]
	v_cmp_eq_f64_e64 s[0:1], 0, v[6:7]
	s_and_b64 s[4:5], vcc, s[0:1]
	s_mov_b64 s[0:1], -1
	s_and_saveexec_b64 s[2:3], s[4:5]
	s_cbranch_execz .LBB22_6
; %bb.5:
	v_cmp_neq_f64_e32 vcc, 1.0, v[8:9]
	s_waitcnt lgkmcnt(0)
	v_cmp_neq_f64_e64 s[0:1], 0, v[10:11]
	s_or_b64 s[0:1], vcc, s[0:1]
	s_orn2_b64 s[0:1], s[0:1], exec
.LBB22_6:
	s_or_b64 exec, exec, s[2:3]
	s_and_saveexec_b64 s[2:3], s[0:1]
	s_cbranch_execz .LBB22_34
; %bb.7:
	s_load_dwordx2 s[4:5], s[6:7], 0x18
	v_lshrrev_b32_e32 v18, 2, v2
	v_lshl_or_b32 v12, s8, 7, v18
	s_waitcnt lgkmcnt(0)
	v_cmp_gt_i32_e32 vcc, s5, v12
	s_and_b64 exec, exec, vcc
	s_cbranch_execz .LBB22_34
; %bb.8:
	s_load_dwordx4 s[0:3], s[6:7], 0x68
	v_ashrrev_i32_e32 v13, 31, v12
	v_lshlrev_b64 v[0:1], 2, v[12:13]
	s_waitcnt lgkmcnt(0)
	v_mov_b32_e32 v3, s1
	v_add_co_u32_e32 v14, vcc, s0, v0
	v_addc_co_u32_e32 v15, vcc, v3, v1, vcc
	global_load_dword v14, v[14:15], off
	v_mov_b32_e32 v3, s3
	v_add_co_u32_e32 v0, vcc, s2, v0
	v_addc_co_u32_e32 v1, vcc, v3, v1, vcc
	global_load_dword v3, v[0:1], off
	s_load_dwordx4 s[0:3], s[6:7], 0x0
	s_load_dwordx2 s[8:9], s[6:7], 0x38
	s_waitcnt lgkmcnt(0)
	s_cmp_eq_u32 s2, 1
	s_cselect_b64 s[14:15], -1, 0
	s_cmpk_eq_i32 s0, 0x6f
	s_cselect_b64 s[16:17], -1, 0
	s_cmpk_lg_i32 s0, 0x6f
	s_cselect_b64 s[18:19], -1, 0
	s_cmp_lg_u32 s2, 1
	s_waitcnt vmcnt(1)
	v_subrev_u32_e32 v0, s10, v14
	v_ashrrev_i32_e32 v1, 31, v0
	s_cbranch_scc0 .LBB22_12
; %bb.9:
	s_andn2_b64 vcc, exec, s[16:17]
	v_pk_mov_b32 v[14:15], v[0:1], v[0:1] op_sel:[0,1]
	s_cbranch_vccnz .LBB22_11
; %bb.10:
	v_mul_lo_u32 v16, v1, s8
	v_mul_lo_u32 v17, v0, s9
	v_mad_u64_u32 v[14:15], s[20:21], v0, s8, 0
	v_add3_u32 v15, v15, v17, v16
.LBB22_11:
	s_cbranch_execz .LBB22_13
	s_branch .LBB22_16
.LBB22_12:
                                        ; implicit-def: $vgpr14_vgpr15
.LBB22_13:
	s_andn2_b64 vcc, exec, s[18:19]
	s_cbranch_vccnz .LBB22_15
; %bb.14:
	v_mul_lo_u32 v14, v1, s8
	v_mul_lo_u32 v15, v0, s9
	v_mad_u64_u32 v[0:1], s[18:19], v0, s8, 0
	v_add3_u32 v1, v1, v15, v14
.LBB22_15:
	v_pk_mov_b32 v[14:15], v[0:1], v[0:1] op_sel:[0,1]
.LBB22_16:
	s_cmp_eq_u32 s3, 1
	s_waitcnt vmcnt(0)
	v_subrev_u32_e32 v0, s10, v3
	s_cselect_b64 s[10:11], -1, 0
	s_cmpk_eq_i32 s1, 0x6f
	s_cselect_b64 s[18:19], -1, 0
	s_cmpk_lg_i32 s1, 0x6f
	s_cselect_b64 s[0:1], -1, 0
	s_cmp_lg_u32 s3, 1
	v_ashrrev_i32_e32 v1, 31, v0
	s_cbranch_scc0 .LBB22_20
; %bb.17:
	s_andn2_b64 vcc, exec, s[0:1]
	v_pk_mov_b32 v[16:17], v[0:1], v[0:1] op_sel:[0,1]
	s_cbranch_vccnz .LBB22_19
; %bb.18:
	v_mul_lo_u32 v3, v1, s12
	v_mul_lo_u32 v19, v0, s13
	v_mad_u64_u32 v[16:17], s[0:1], v0, s12, 0
	v_add3_u32 v17, v17, v19, v3
.LBB22_19:
	s_cbranch_execz .LBB22_21
	s_branch .LBB22_24
.LBB22_20:
                                        ; implicit-def: $vgpr16_vgpr17
.LBB22_21:
	s_andn2_b64 vcc, exec, s[18:19]
	s_cbranch_vccnz .LBB22_23
; %bb.22:
	v_mul_lo_u32 v3, v1, s12
	v_mul_lo_u32 v16, v0, s13
	v_mad_u64_u32 v[0:1], s[0:1], v0, s12, 0
	v_add3_u32 v1, v1, v16, v3
.LBB22_23:
	v_pk_mov_b32 v[16:17], v[0:1], v[0:1] op_sel:[0,1]
.LBB22_24:
	s_load_dwordx2 s[0:1], s[6:7], 0x60
	v_and_b32_e32 v19, 3, v2
	v_pk_mov_b32 v[2:3], 0, 0
	v_cmp_gt_i32_e32 vcc, s4, v19
	v_pk_mov_b32 v[0:1], v[2:3], v[2:3] op_sel:[0,1]
	s_and_saveexec_b64 s[2:3], vcc
	s_cbranch_execz .LBB22_28
; %bb.25:
	s_load_dwordx2 s[20:21], s[6:7], 0x40
	s_load_dwordx2 s[22:23], s[6:7], 0x30
	v_lshlrev_b64 v[0:1], 4, v[16:17]
	s_xor_b64 s[6:7], s[16:17], s[14:15]
	s_and_b64 s[6:7], s[6:7], exec
	s_waitcnt lgkmcnt(0)
	v_mov_b32_e32 v2, s21
	v_add_co_u32_e32 v20, vcc, s20, v0
	v_addc_co_u32_e32 v21, vcc, v2, v1, vcc
	v_lshlrev_b64 v[0:1], 4, v[14:15]
	s_cselect_b32 s8, 1, s8
	s_xor_b64 s[6:7], s[18:19], s[10:11]
	v_mov_b32_e32 v2, s23
	v_add_co_u32_e32 v22, vcc, s22, v0
	s_and_b64 s[6:7], s[6:7], exec
	v_addc_co_u32_e32 v23, vcc, v2, v1, vcc
	s_cselect_b32 s5, s12, 1
	v_pk_mov_b32 v[2:3], 0, 0
	v_mul_lo_u32 v14, s5, v19
	s_lshl_b32 s5, s5, 2
	v_mul_lo_u32 v16, s8, v19
	s_lshl_b32 s8, s8, 2
	s_mov_b64 s[6:7], 0
	v_mov_b32_e32 v24, v19
	v_pk_mov_b32 v[0:1], v[2:3], v[2:3] op_sel:[0,1]
.LBB22_26:                              ; =>This Inner Loop Header: Depth=1
	v_ashrrev_i32_e32 v17, 31, v16
	v_lshlrev_b64 v[26:27], 4, v[16:17]
	v_add_co_u32_e32 v34, vcc, v22, v26
	v_ashrrev_i32_e32 v15, 31, v14
	v_addc_co_u32_e32 v35, vcc, v23, v27, vcc
	v_lshlrev_b64 v[26:27], 4, v[14:15]
	v_add_co_u32_e32 v36, vcc, v20, v26
	v_addc_co_u32_e32 v37, vcc, v21, v27, vcc
	global_load_dwordx4 v[26:29], v[36:37], off
	global_load_dwordx4 v[30:33], v[34:35], off
	v_add_u32_e32 v24, 4, v24
	v_cmp_le_i32_e32 vcc, s4, v24
	v_add_u32_e32 v14, s5, v14
	s_or_b64 s[6:7], vcc, s[6:7]
	v_add_u32_e32 v16, s8, v16
	s_waitcnt vmcnt(0)
	v_mul_f64 v[34:35], v[28:29], -v[32:33]
	v_mul_f64 v[28:29], v[28:29], v[30:31]
	v_fmac_f64_e32 v[34:35], v[30:31], v[26:27]
	v_fmac_f64_e32 v[28:29], v[32:33], v[26:27]
	v_add_f64 v[0:1], v[0:1], v[34:35]
	v_add_f64 v[2:3], v[2:3], v[28:29]
	s_andn2_b64 exec, exec, s[6:7]
	s_cbranch_execnz .LBB22_26
; %bb.27:
	s_or_b64 exec, exec, s[6:7]
.LBB22_28:
	s_or_b64 exec, exec, s[2:3]
	v_lshlrev_b32_e32 v14, 4, v19
	v_lshl_or_b32 v14, v18, 6, v14
	v_cmp_gt_u32_e32 vcc, 2, v19
	ds_write_b128 v14, v[0:3]
	s_waitcnt lgkmcnt(0)
	s_barrier
	s_and_saveexec_b64 s[2:3], vcc
	s_cbranch_execz .LBB22_30
; %bb.29:
	ds_read_b128 v[0:3], v14
	ds_read_b128 v[20:23], v14 offset:32
	s_waitcnt lgkmcnt(0)
	v_add_f64 v[0:1], v[20:21], v[0:1]
	v_add_f64 v[2:3], v[22:23], v[2:3]
	ds_write_b128 v14, v[0:3]
.LBB22_30:
	s_or_b64 exec, exec, s[2:3]
	v_cmp_eq_u32_e32 vcc, 0, v19
	v_lshlrev_b32_e32 v0, 6, v18
	s_waitcnt lgkmcnt(0)
	s_barrier
	s_and_saveexec_b64 s[2:3], vcc
	s_cbranch_execz .LBB22_32
; %bb.31:
	ds_read_b128 v[16:19], v0 offset:16
	ds_read_b128 v[20:23], v14
	s_waitcnt lgkmcnt(0)
	v_add_f64 v[16:17], v[16:17], v[20:21]
	v_add_f64 v[18:19], v[18:19], v[22:23]
	ds_write_b128 v14, v[16:19]
.LBB22_32:
	s_or_b64 exec, exec, s[2:3]
	s_waitcnt lgkmcnt(0)
	s_barrier
	s_and_b64 exec, exec, vcc
	s_cbranch_execz .LBB22_34
; %bb.33:
	v_lshlrev_b64 v[2:3], 4, v[12:13]
	v_mov_b32_e32 v1, s1
	v_add_co_u32_e32 v16, vcc, s0, v2
	v_addc_co_u32_e32 v17, vcc, v1, v3, vcc
	global_load_dwordx4 v[12:15], v[16:17], off
	ds_read_b128 v[0:3], v0
	s_waitcnt lgkmcnt(0)
	v_mul_f64 v[18:19], v[2:3], -v[6:7]
	v_mul_f64 v[2:3], v[4:5], v[2:3]
	v_fmac_f64_e32 v[18:19], v[4:5], v[0:1]
	v_fmac_f64_e32 v[2:3], v[6:7], v[0:1]
	s_waitcnt vmcnt(0)
	v_mul_f64 v[0:1], v[10:11], -v[14:15]
	v_mul_f64 v[4:5], v[10:11], v[12:13]
	v_fmac_f64_e32 v[0:1], v[12:13], v[8:9]
	v_fmac_f64_e32 v[4:5], v[14:15], v[8:9]
	v_add_f64 v[0:1], v[0:1], v[18:19]
	v_add_f64 v[2:3], v[4:5], v[2:3]
	global_store_dwordx4 v[16:17], v[0:3], off
.LBB22_34:
	s_endpgm
	.section	.rodata,"a",@progbits
	.p2align	6, 0x0
	.amdhsa_kernel _ZN9rocsparseL17sddmm_coox_kernelILi512ELi4ELb0E21rocsparse_complex_numIdEiiS2_S2_S2_EEv20rocsparse_operation_S3_16rocsparse_order_S4_T4_S5_S5_T3_NS_24const_host_device_scalarIT2_EEPKT5_lPKT6_lS9_PT7_PKS6_SJ_21rocsparse_index_base_b
		.amdhsa_group_segment_fixed_size 16384
		.amdhsa_private_segment_fixed_size 0
		.amdhsa_kernarg_size 128
		.amdhsa_user_sgpr_count 8
		.amdhsa_user_sgpr_private_segment_buffer 1
		.amdhsa_user_sgpr_dispatch_ptr 1
		.amdhsa_user_sgpr_queue_ptr 0
		.amdhsa_user_sgpr_kernarg_segment_ptr 1
		.amdhsa_user_sgpr_dispatch_id 0
		.amdhsa_user_sgpr_flat_scratch_init 0
		.amdhsa_user_sgpr_kernarg_preload_length 0
		.amdhsa_user_sgpr_kernarg_preload_offset 0
		.amdhsa_user_sgpr_private_segment_size 0
		.amdhsa_uses_dynamic_stack 0
		.amdhsa_system_sgpr_private_segment_wavefront_offset 0
		.amdhsa_system_sgpr_workgroup_id_x 1
		.amdhsa_system_sgpr_workgroup_id_y 0
		.amdhsa_system_sgpr_workgroup_id_z 0
		.amdhsa_system_sgpr_workgroup_info 0
		.amdhsa_system_vgpr_workitem_id 2
		.amdhsa_next_free_vgpr 38
		.amdhsa_next_free_sgpr 24
		.amdhsa_accum_offset 40
		.amdhsa_reserve_vcc 1
		.amdhsa_reserve_flat_scratch 0
		.amdhsa_float_round_mode_32 0
		.amdhsa_float_round_mode_16_64 0
		.amdhsa_float_denorm_mode_32 3
		.amdhsa_float_denorm_mode_16_64 3
		.amdhsa_dx10_clamp 1
		.amdhsa_ieee_mode 1
		.amdhsa_fp16_overflow 0
		.amdhsa_tg_split 0
		.amdhsa_exception_fp_ieee_invalid_op 0
		.amdhsa_exception_fp_denorm_src 0
		.amdhsa_exception_fp_ieee_div_zero 0
		.amdhsa_exception_fp_ieee_overflow 0
		.amdhsa_exception_fp_ieee_underflow 0
		.amdhsa_exception_fp_ieee_inexact 0
		.amdhsa_exception_int_div_zero 0
	.end_amdhsa_kernel
	.section	.text._ZN9rocsparseL17sddmm_coox_kernelILi512ELi4ELb0E21rocsparse_complex_numIdEiiS2_S2_S2_EEv20rocsparse_operation_S3_16rocsparse_order_S4_T4_S5_S5_T3_NS_24const_host_device_scalarIT2_EEPKT5_lPKT6_lS9_PT7_PKS6_SJ_21rocsparse_index_base_b,"axG",@progbits,_ZN9rocsparseL17sddmm_coox_kernelILi512ELi4ELb0E21rocsparse_complex_numIdEiiS2_S2_S2_EEv20rocsparse_operation_S3_16rocsparse_order_S4_T4_S5_S5_T3_NS_24const_host_device_scalarIT2_EEPKT5_lPKT6_lS9_PT7_PKS6_SJ_21rocsparse_index_base_b,comdat
.Lfunc_end22:
	.size	_ZN9rocsparseL17sddmm_coox_kernelILi512ELi4ELb0E21rocsparse_complex_numIdEiiS2_S2_S2_EEv20rocsparse_operation_S3_16rocsparse_order_S4_T4_S5_S5_T3_NS_24const_host_device_scalarIT2_EEPKT5_lPKT6_lS9_PT7_PKS6_SJ_21rocsparse_index_base_b, .Lfunc_end22-_ZN9rocsparseL17sddmm_coox_kernelILi512ELi4ELb0E21rocsparse_complex_numIdEiiS2_S2_S2_EEv20rocsparse_operation_S3_16rocsparse_order_S4_T4_S5_S5_T3_NS_24const_host_device_scalarIT2_EEPKT5_lPKT6_lS9_PT7_PKS6_SJ_21rocsparse_index_base_b
                                        ; -- End function
	.section	.AMDGPU.csdata,"",@progbits
; Kernel info:
; codeLenInByte = 1372
; NumSgprs: 28
; NumVgprs: 38
; NumAgprs: 0
; TotalNumVgprs: 38
; ScratchSize: 0
; MemoryBound: 0
; FloatMode: 240
; IeeeMode: 1
; LDSByteSize: 16384 bytes/workgroup (compile time only)
; SGPRBlocks: 3
; VGPRBlocks: 4
; NumSGPRsForWavesPerEU: 28
; NumVGPRsForWavesPerEU: 38
; AccumOffset: 40
; Occupancy: 8
; WaveLimiterHint : 0
; COMPUTE_PGM_RSRC2:SCRATCH_EN: 0
; COMPUTE_PGM_RSRC2:USER_SGPR: 8
; COMPUTE_PGM_RSRC2:TRAP_HANDLER: 0
; COMPUTE_PGM_RSRC2:TGID_X_EN: 1
; COMPUTE_PGM_RSRC2:TGID_Y_EN: 0
; COMPUTE_PGM_RSRC2:TGID_Z_EN: 0
; COMPUTE_PGM_RSRC2:TIDIG_COMP_CNT: 2
; COMPUTE_PGM_RSRC3_GFX90A:ACCUM_OFFSET: 9
; COMPUTE_PGM_RSRC3_GFX90A:TG_SPLIT: 0
	.section	.text._ZN9rocsparseL17sddmm_coox_kernelILi512ELi2ELb0E21rocsparse_complex_numIdEiiS2_S2_S2_EEv20rocsparse_operation_S3_16rocsparse_order_S4_T4_S5_S5_T3_NS_24const_host_device_scalarIT2_EEPKT5_lPKT6_lS9_PT7_PKS6_SJ_21rocsparse_index_base_b,"axG",@progbits,_ZN9rocsparseL17sddmm_coox_kernelILi512ELi2ELb0E21rocsparse_complex_numIdEiiS2_S2_S2_EEv20rocsparse_operation_S3_16rocsparse_order_S4_T4_S5_S5_T3_NS_24const_host_device_scalarIT2_EEPKT5_lPKT6_lS9_PT7_PKS6_SJ_21rocsparse_index_base_b,comdat
	.globl	_ZN9rocsparseL17sddmm_coox_kernelILi512ELi2ELb0E21rocsparse_complex_numIdEiiS2_S2_S2_EEv20rocsparse_operation_S3_16rocsparse_order_S4_T4_S5_S5_T3_NS_24const_host_device_scalarIT2_EEPKT5_lPKT6_lS9_PT7_PKS6_SJ_21rocsparse_index_base_b ; -- Begin function _ZN9rocsparseL17sddmm_coox_kernelILi512ELi2ELb0E21rocsparse_complex_numIdEiiS2_S2_S2_EEv20rocsparse_operation_S3_16rocsparse_order_S4_T4_S5_S5_T3_NS_24const_host_device_scalarIT2_EEPKT5_lPKT6_lS9_PT7_PKS6_SJ_21rocsparse_index_base_b
	.p2align	8
	.type	_ZN9rocsparseL17sddmm_coox_kernelILi512ELi2ELb0E21rocsparse_complex_numIdEiiS2_S2_S2_EEv20rocsparse_operation_S3_16rocsparse_order_S4_T4_S5_S5_T3_NS_24const_host_device_scalarIT2_EEPKT5_lPKT6_lS9_PT7_PKS6_SJ_21rocsparse_index_base_b,@function
_ZN9rocsparseL17sddmm_coox_kernelILi512ELi2ELb0E21rocsparse_complex_numIdEiiS2_S2_S2_EEv20rocsparse_operation_S3_16rocsparse_order_S4_T4_S5_S5_T3_NS_24const_host_device_scalarIT2_EEPKT5_lPKT6_lS9_PT7_PKS6_SJ_21rocsparse_index_base_b: ; @_ZN9rocsparseL17sddmm_coox_kernelILi512ELi2ELb0E21rocsparse_complex_numIdEiiS2_S2_S2_EEv20rocsparse_operation_S3_16rocsparse_order_S4_T4_S5_S5_T3_NS_24const_host_device_scalarIT2_EEPKT5_lPKT6_lS9_PT7_PKS6_SJ_21rocsparse_index_base_b
; %bb.0:
	s_load_dwordx2 s[10:11], s[6:7], 0x78
	s_load_dwordx4 s[16:19], s[6:7], 0x20
	s_load_dwordx4 s[12:15], s[6:7], 0x48
	s_mov_b64 s[2:3], src_shared_base
	s_load_dwordx2 s[4:5], s[4:5], 0x4
	s_waitcnt lgkmcnt(0)
	s_bitcmp1_b32 s11, 0
	s_cselect_b64 s[0:1], -1, 0
	s_and_b64 vcc, s[0:1], exec
	s_cselect_b32 s2, s3, s17
	s_lshr_b32 s4, s4, 16
	v_and_b32_e32 v2, 0x3ff, v0
	s_mul_i32 s4, s4, s5
	v_mul_lo_u32 v1, s4, v2
	v_bfe_u32 v4, v0, 10, 10
	v_mad_u32_u24 v1, v4, s5, v1
	v_bfe_u32 v0, v0, 20, 10
	v_add_lshl_u32 v6, v1, v0, 3
	v_mov_b32_e32 v3, s16
	v_add_u32_e32 v7, 0x3000, v6
	v_pk_mov_b32 v[0:1], s[16:17], s[16:17] op_sel:[0,1]
	v_pk_mov_b32 v[4:5], s[14:15], s[14:15] op_sel:[0,1]
	ds_write2st64_b64 v6, v[4:5], v[0:1] offset0:16 offset1:24
	v_cndmask_b32_e64 v0, v3, v7, s[0:1]
	v_mov_b32_e32 v1, s2
	flat_load_dwordx2 v[4:5], v[0:1]
	s_load_dwordx2 s[4:5], s[6:7], 0x58
	s_xor_b64 s[20:21], s[0:1], -1
	v_add_u32_e32 v0, 0x2000, v6
	v_pk_mov_b32 v[6:7], s[18:19], s[18:19] op_sel:[0,1]
	s_cbranch_vccnz .LBB23_2
; %bb.1:
	v_pk_mov_b32 v[6:7], s[16:17], s[16:17] op_sel:[0,1]
	flat_load_dwordx2 v[6:7], v[6:7] offset:8
.LBB23_2:
	s_and_b64 s[16:17], s[0:1], exec
	s_cselect_b32 s2, s3, s15
	v_mov_b32_e32 v1, s14
	v_cndmask_b32_e64 v0, v1, v0, s[0:1]
	v_mov_b32_e32 v1, s2
	flat_load_dwordx2 v[8:9], v[0:1]
	s_andn2_b64 vcc, exec, s[20:21]
	s_waitcnt lgkmcnt(0)
	v_pk_mov_b32 v[10:11], s[4:5], s[4:5] op_sel:[0,1]
	s_cbranch_vccnz .LBB23_4
; %bb.3:
	v_pk_mov_b32 v[0:1], s[14:15], s[14:15] op_sel:[0,1]
	flat_load_dwordx2 v[10:11], v[0:1] offset:8
.LBB23_4:
	s_waitcnt vmcnt(0)
	v_cmp_eq_f64_e32 vcc, 0, v[4:5]
	v_cmp_eq_f64_e64 s[0:1], 0, v[6:7]
	s_and_b64 s[4:5], vcc, s[0:1]
	s_mov_b64 s[0:1], -1
	s_and_saveexec_b64 s[2:3], s[4:5]
	s_cbranch_execz .LBB23_6
; %bb.5:
	v_cmp_neq_f64_e32 vcc, 1.0, v[8:9]
	s_waitcnt lgkmcnt(0)
	v_cmp_neq_f64_e64 s[0:1], 0, v[10:11]
	s_or_b64 s[0:1], vcc, s[0:1]
	s_orn2_b64 s[0:1], s[0:1], exec
.LBB23_6:
	s_or_b64 exec, exec, s[2:3]
	s_and_saveexec_b64 s[2:3], s[0:1]
	s_cbranch_execz .LBB23_32
; %bb.7:
	s_load_dwordx2 s[4:5], s[6:7], 0x18
	v_lshrrev_b32_e32 v18, 1, v2
	v_lshl_or_b32 v12, s8, 8, v18
	s_waitcnt lgkmcnt(0)
	v_cmp_gt_i32_e32 vcc, s5, v12
	s_and_b64 exec, exec, vcc
	s_cbranch_execz .LBB23_32
; %bb.8:
	s_load_dwordx4 s[0:3], s[6:7], 0x68
	v_ashrrev_i32_e32 v13, 31, v12
	v_lshlrev_b64 v[0:1], 2, v[12:13]
	s_waitcnt lgkmcnt(0)
	v_mov_b32_e32 v3, s1
	v_add_co_u32_e32 v14, vcc, s0, v0
	v_addc_co_u32_e32 v15, vcc, v3, v1, vcc
	global_load_dword v14, v[14:15], off
	v_mov_b32_e32 v3, s3
	v_add_co_u32_e32 v0, vcc, s2, v0
	v_addc_co_u32_e32 v1, vcc, v3, v1, vcc
	global_load_dword v3, v[0:1], off
	s_load_dwordx4 s[0:3], s[6:7], 0x0
	s_load_dwordx2 s[8:9], s[6:7], 0x38
	s_waitcnt lgkmcnt(0)
	s_cmp_eq_u32 s2, 1
	s_cselect_b64 s[14:15], -1, 0
	s_cmpk_eq_i32 s0, 0x6f
	s_cselect_b64 s[16:17], -1, 0
	s_cmpk_lg_i32 s0, 0x6f
	s_cselect_b64 s[18:19], -1, 0
	s_cmp_lg_u32 s2, 1
	s_waitcnt vmcnt(1)
	v_subrev_u32_e32 v0, s10, v14
	v_ashrrev_i32_e32 v1, 31, v0
	s_cbranch_scc0 .LBB23_12
; %bb.9:
	s_andn2_b64 vcc, exec, s[16:17]
	v_pk_mov_b32 v[14:15], v[0:1], v[0:1] op_sel:[0,1]
	s_cbranch_vccnz .LBB23_11
; %bb.10:
	v_mul_lo_u32 v16, v1, s8
	v_mul_lo_u32 v17, v0, s9
	v_mad_u64_u32 v[14:15], s[20:21], v0, s8, 0
	v_add3_u32 v15, v15, v17, v16
.LBB23_11:
	s_cbranch_execz .LBB23_13
	s_branch .LBB23_16
.LBB23_12:
                                        ; implicit-def: $vgpr14_vgpr15
.LBB23_13:
	s_andn2_b64 vcc, exec, s[18:19]
	s_cbranch_vccnz .LBB23_15
; %bb.14:
	v_mul_lo_u32 v14, v1, s8
	v_mul_lo_u32 v15, v0, s9
	v_mad_u64_u32 v[0:1], s[18:19], v0, s8, 0
	v_add3_u32 v1, v1, v15, v14
.LBB23_15:
	v_pk_mov_b32 v[14:15], v[0:1], v[0:1] op_sel:[0,1]
.LBB23_16:
	s_cmp_eq_u32 s3, 1
	s_waitcnt vmcnt(0)
	v_subrev_u32_e32 v0, s10, v3
	s_cselect_b64 s[10:11], -1, 0
	s_cmpk_eq_i32 s1, 0x6f
	s_cselect_b64 s[18:19], -1, 0
	s_cmpk_lg_i32 s1, 0x6f
	s_cselect_b64 s[0:1], -1, 0
	s_cmp_lg_u32 s3, 1
	v_ashrrev_i32_e32 v1, 31, v0
	s_cbranch_scc0 .LBB23_20
; %bb.17:
	s_andn2_b64 vcc, exec, s[0:1]
	v_pk_mov_b32 v[16:17], v[0:1], v[0:1] op_sel:[0,1]
	s_cbranch_vccnz .LBB23_19
; %bb.18:
	v_mul_lo_u32 v3, v1, s12
	v_mul_lo_u32 v19, v0, s13
	v_mad_u64_u32 v[16:17], s[0:1], v0, s12, 0
	v_add3_u32 v17, v17, v19, v3
.LBB23_19:
	s_cbranch_execz .LBB23_21
	s_branch .LBB23_24
.LBB23_20:
                                        ; implicit-def: $vgpr16_vgpr17
.LBB23_21:
	s_andn2_b64 vcc, exec, s[18:19]
	s_cbranch_vccnz .LBB23_23
; %bb.22:
	v_mul_lo_u32 v3, v1, s12
	v_mul_lo_u32 v16, v0, s13
	v_mad_u64_u32 v[0:1], s[0:1], v0, s12, 0
	v_add3_u32 v1, v1, v16, v3
.LBB23_23:
	v_pk_mov_b32 v[16:17], v[0:1], v[0:1] op_sel:[0,1]
.LBB23_24:
	s_load_dwordx2 s[0:1], s[6:7], 0x60
	v_and_b32_e32 v19, 1, v2
	v_pk_mov_b32 v[2:3], 0, 0
	v_cmp_gt_i32_e32 vcc, s4, v19
	v_pk_mov_b32 v[0:1], v[2:3], v[2:3] op_sel:[0,1]
	s_and_saveexec_b64 s[2:3], vcc
	s_cbranch_execz .LBB23_28
; %bb.25:
	s_load_dwordx2 s[20:21], s[6:7], 0x40
	s_load_dwordx2 s[22:23], s[6:7], 0x30
	v_lshlrev_b64 v[0:1], 4, v[16:17]
	s_xor_b64 s[6:7], s[16:17], s[14:15]
	s_and_b64 s[6:7], s[6:7], exec
	s_waitcnt lgkmcnt(0)
	v_mov_b32_e32 v2, s21
	v_add_co_u32_e32 v20, vcc, s20, v0
	v_addc_co_u32_e32 v21, vcc, v2, v1, vcc
	v_lshlrev_b64 v[0:1], 4, v[14:15]
	s_cselect_b32 s8, 1, s8
	s_xor_b64 s[6:7], s[18:19], s[10:11]
	v_mov_b32_e32 v2, s23
	v_add_co_u32_e32 v22, vcc, s22, v0
	s_and_b64 s[6:7], s[6:7], exec
	v_addc_co_u32_e32 v23, vcc, v2, v1, vcc
	s_cselect_b32 s5, s12, 1
	v_pk_mov_b32 v[2:3], 0, 0
	v_mul_lo_u32 v14, s5, v19
	s_lshl_b32 s5, s5, 1
	v_mul_lo_u32 v16, s8, v19
	s_lshl_b32 s8, s8, 1
	s_mov_b64 s[6:7], 0
	v_mov_b32_e32 v24, v19
	v_pk_mov_b32 v[0:1], v[2:3], v[2:3] op_sel:[0,1]
.LBB23_26:                              ; =>This Inner Loop Header: Depth=1
	v_ashrrev_i32_e32 v17, 31, v16
	v_lshlrev_b64 v[26:27], 4, v[16:17]
	v_add_co_u32_e32 v34, vcc, v22, v26
	v_ashrrev_i32_e32 v15, 31, v14
	v_addc_co_u32_e32 v35, vcc, v23, v27, vcc
	v_lshlrev_b64 v[26:27], 4, v[14:15]
	v_add_co_u32_e32 v36, vcc, v20, v26
	v_addc_co_u32_e32 v37, vcc, v21, v27, vcc
	global_load_dwordx4 v[26:29], v[36:37], off
	global_load_dwordx4 v[30:33], v[34:35], off
	v_add_u32_e32 v24, 2, v24
	v_cmp_le_i32_e32 vcc, s4, v24
	v_add_u32_e32 v14, s5, v14
	s_or_b64 s[6:7], vcc, s[6:7]
	v_add_u32_e32 v16, s8, v16
	s_waitcnt vmcnt(0)
	v_mul_f64 v[34:35], v[28:29], -v[32:33]
	v_mul_f64 v[28:29], v[28:29], v[30:31]
	v_fmac_f64_e32 v[34:35], v[30:31], v[26:27]
	v_fmac_f64_e32 v[28:29], v[32:33], v[26:27]
	v_add_f64 v[0:1], v[0:1], v[34:35]
	v_add_f64 v[2:3], v[2:3], v[28:29]
	s_andn2_b64 exec, exec, s[6:7]
	s_cbranch_execnz .LBB23_26
; %bb.27:
	s_or_b64 exec, exec, s[6:7]
.LBB23_28:
	s_or_b64 exec, exec, s[2:3]
	v_lshlrev_b32_e32 v14, 5, v18
	v_lshl_or_b32 v15, v19, 4, v14
	v_cmp_eq_u32_e32 vcc, 0, v19
	ds_write_b128 v15, v[0:3]
	s_waitcnt lgkmcnt(0)
	s_barrier
	s_and_saveexec_b64 s[2:3], vcc
	s_cbranch_execz .LBB23_30
; %bb.29:
	ds_read_b128 v[0:3], v14 offset:16
	ds_read_b128 v[16:19], v15
	s_waitcnt lgkmcnt(0)
	v_add_f64 v[0:1], v[0:1], v[16:17]
	v_add_f64 v[2:3], v[2:3], v[18:19]
	ds_write_b128 v15, v[0:3]
.LBB23_30:
	s_or_b64 exec, exec, s[2:3]
	s_waitcnt lgkmcnt(0)
	s_barrier
	s_and_b64 exec, exec, vcc
	s_cbranch_execz .LBB23_32
; %bb.31:
	v_lshlrev_b64 v[0:1], 4, v[12:13]
	v_mov_b32_e32 v2, s1
	v_add_co_u32_e32 v16, vcc, s0, v0
	v_addc_co_u32_e32 v17, vcc, v2, v1, vcc
	global_load_dwordx4 v[0:3], v[16:17], off
	ds_read_b128 v[12:15], v14
	s_waitcnt lgkmcnt(0)
	v_mul_f64 v[18:19], v[14:15], -v[6:7]
	v_mul_f64 v[14:15], v[4:5], v[14:15]
	v_fmac_f64_e32 v[18:19], v[4:5], v[12:13]
	v_fmac_f64_e32 v[14:15], v[6:7], v[12:13]
	s_waitcnt vmcnt(0)
	v_mul_f64 v[4:5], v[10:11], -v[2:3]
	v_mul_f64 v[6:7], v[10:11], v[0:1]
	v_fmac_f64_e32 v[4:5], v[0:1], v[8:9]
	v_fmac_f64_e32 v[6:7], v[2:3], v[8:9]
	v_add_f64 v[0:1], v[4:5], v[18:19]
	v_add_f64 v[2:3], v[6:7], v[14:15]
	global_store_dwordx4 v[16:17], v[0:3], off
.LBB23_32:
	s_endpgm
	.section	.rodata,"a",@progbits
	.p2align	6, 0x0
	.amdhsa_kernel _ZN9rocsparseL17sddmm_coox_kernelILi512ELi2ELb0E21rocsparse_complex_numIdEiiS2_S2_S2_EEv20rocsparse_operation_S3_16rocsparse_order_S4_T4_S5_S5_T3_NS_24const_host_device_scalarIT2_EEPKT5_lPKT6_lS9_PT7_PKS6_SJ_21rocsparse_index_base_b
		.amdhsa_group_segment_fixed_size 16384
		.amdhsa_private_segment_fixed_size 0
		.amdhsa_kernarg_size 128
		.amdhsa_user_sgpr_count 8
		.amdhsa_user_sgpr_private_segment_buffer 1
		.amdhsa_user_sgpr_dispatch_ptr 1
		.amdhsa_user_sgpr_queue_ptr 0
		.amdhsa_user_sgpr_kernarg_segment_ptr 1
		.amdhsa_user_sgpr_dispatch_id 0
		.amdhsa_user_sgpr_flat_scratch_init 0
		.amdhsa_user_sgpr_kernarg_preload_length 0
		.amdhsa_user_sgpr_kernarg_preload_offset 0
		.amdhsa_user_sgpr_private_segment_size 0
		.amdhsa_uses_dynamic_stack 0
		.amdhsa_system_sgpr_private_segment_wavefront_offset 0
		.amdhsa_system_sgpr_workgroup_id_x 1
		.amdhsa_system_sgpr_workgroup_id_y 0
		.amdhsa_system_sgpr_workgroup_id_z 0
		.amdhsa_system_sgpr_workgroup_info 0
		.amdhsa_system_vgpr_workitem_id 2
		.amdhsa_next_free_vgpr 38
		.amdhsa_next_free_sgpr 24
		.amdhsa_accum_offset 40
		.amdhsa_reserve_vcc 1
		.amdhsa_reserve_flat_scratch 0
		.amdhsa_float_round_mode_32 0
		.amdhsa_float_round_mode_16_64 0
		.amdhsa_float_denorm_mode_32 3
		.amdhsa_float_denorm_mode_16_64 3
		.amdhsa_dx10_clamp 1
		.amdhsa_ieee_mode 1
		.amdhsa_fp16_overflow 0
		.amdhsa_tg_split 0
		.amdhsa_exception_fp_ieee_invalid_op 0
		.amdhsa_exception_fp_denorm_src 0
		.amdhsa_exception_fp_ieee_div_zero 0
		.amdhsa_exception_fp_ieee_overflow 0
		.amdhsa_exception_fp_ieee_underflow 0
		.amdhsa_exception_fp_ieee_inexact 0
		.amdhsa_exception_int_div_zero 0
	.end_amdhsa_kernel
	.section	.text._ZN9rocsparseL17sddmm_coox_kernelILi512ELi2ELb0E21rocsparse_complex_numIdEiiS2_S2_S2_EEv20rocsparse_operation_S3_16rocsparse_order_S4_T4_S5_S5_T3_NS_24const_host_device_scalarIT2_EEPKT5_lPKT6_lS9_PT7_PKS6_SJ_21rocsparse_index_base_b,"axG",@progbits,_ZN9rocsparseL17sddmm_coox_kernelILi512ELi2ELb0E21rocsparse_complex_numIdEiiS2_S2_S2_EEv20rocsparse_operation_S3_16rocsparse_order_S4_T4_S5_S5_T3_NS_24const_host_device_scalarIT2_EEPKT5_lPKT6_lS9_PT7_PKS6_SJ_21rocsparse_index_base_b,comdat
.Lfunc_end23:
	.size	_ZN9rocsparseL17sddmm_coox_kernelILi512ELi2ELb0E21rocsparse_complex_numIdEiiS2_S2_S2_EEv20rocsparse_operation_S3_16rocsparse_order_S4_T4_S5_S5_T3_NS_24const_host_device_scalarIT2_EEPKT5_lPKT6_lS9_PT7_PKS6_SJ_21rocsparse_index_base_b, .Lfunc_end23-_ZN9rocsparseL17sddmm_coox_kernelILi512ELi2ELb0E21rocsparse_complex_numIdEiiS2_S2_S2_EEv20rocsparse_operation_S3_16rocsparse_order_S4_T4_S5_S5_T3_NS_24const_host_device_scalarIT2_EEPKT5_lPKT6_lS9_PT7_PKS6_SJ_21rocsparse_index_base_b
                                        ; -- End function
	.section	.AMDGPU.csdata,"",@progbits
; Kernel info:
; codeLenInByte = 1300
; NumSgprs: 28
; NumVgprs: 38
; NumAgprs: 0
; TotalNumVgprs: 38
; ScratchSize: 0
; MemoryBound: 0
; FloatMode: 240
; IeeeMode: 1
; LDSByteSize: 16384 bytes/workgroup (compile time only)
; SGPRBlocks: 3
; VGPRBlocks: 4
; NumSGPRsForWavesPerEU: 28
; NumVGPRsForWavesPerEU: 38
; AccumOffset: 40
; Occupancy: 8
; WaveLimiterHint : 0
; COMPUTE_PGM_RSRC2:SCRATCH_EN: 0
; COMPUTE_PGM_RSRC2:USER_SGPR: 8
; COMPUTE_PGM_RSRC2:TRAP_HANDLER: 0
; COMPUTE_PGM_RSRC2:TGID_X_EN: 1
; COMPUTE_PGM_RSRC2:TGID_Y_EN: 0
; COMPUTE_PGM_RSRC2:TGID_Z_EN: 0
; COMPUTE_PGM_RSRC2:TIDIG_COMP_CNT: 2
; COMPUTE_PGM_RSRC3_GFX90A:ACCUM_OFFSET: 9
; COMPUTE_PGM_RSRC3_GFX90A:TG_SPLIT: 0
	.section	.text._ZN9rocsparseL17sddmm_coox_kernelILi512ELi1ELb0E21rocsparse_complex_numIdEiiS2_S2_S2_EEv20rocsparse_operation_S3_16rocsparse_order_S4_T4_S5_S5_T3_NS_24const_host_device_scalarIT2_EEPKT5_lPKT6_lS9_PT7_PKS6_SJ_21rocsparse_index_base_b,"axG",@progbits,_ZN9rocsparseL17sddmm_coox_kernelILi512ELi1ELb0E21rocsparse_complex_numIdEiiS2_S2_S2_EEv20rocsparse_operation_S3_16rocsparse_order_S4_T4_S5_S5_T3_NS_24const_host_device_scalarIT2_EEPKT5_lPKT6_lS9_PT7_PKS6_SJ_21rocsparse_index_base_b,comdat
	.globl	_ZN9rocsparseL17sddmm_coox_kernelILi512ELi1ELb0E21rocsparse_complex_numIdEiiS2_S2_S2_EEv20rocsparse_operation_S3_16rocsparse_order_S4_T4_S5_S5_T3_NS_24const_host_device_scalarIT2_EEPKT5_lPKT6_lS9_PT7_PKS6_SJ_21rocsparse_index_base_b ; -- Begin function _ZN9rocsparseL17sddmm_coox_kernelILi512ELi1ELb0E21rocsparse_complex_numIdEiiS2_S2_S2_EEv20rocsparse_operation_S3_16rocsparse_order_S4_T4_S5_S5_T3_NS_24const_host_device_scalarIT2_EEPKT5_lPKT6_lS9_PT7_PKS6_SJ_21rocsparse_index_base_b
	.p2align	8
	.type	_ZN9rocsparseL17sddmm_coox_kernelILi512ELi1ELb0E21rocsparse_complex_numIdEiiS2_S2_S2_EEv20rocsparse_operation_S3_16rocsparse_order_S4_T4_S5_S5_T3_NS_24const_host_device_scalarIT2_EEPKT5_lPKT6_lS9_PT7_PKS6_SJ_21rocsparse_index_base_b,@function
_ZN9rocsparseL17sddmm_coox_kernelILi512ELi1ELb0E21rocsparse_complex_numIdEiiS2_S2_S2_EEv20rocsparse_operation_S3_16rocsparse_order_S4_T4_S5_S5_T3_NS_24const_host_device_scalarIT2_EEPKT5_lPKT6_lS9_PT7_PKS6_SJ_21rocsparse_index_base_b: ; @_ZN9rocsparseL17sddmm_coox_kernelILi512ELi1ELb0E21rocsparse_complex_numIdEiiS2_S2_S2_EEv20rocsparse_operation_S3_16rocsparse_order_S4_T4_S5_S5_T3_NS_24const_host_device_scalarIT2_EEPKT5_lPKT6_lS9_PT7_PKS6_SJ_21rocsparse_index_base_b
; %bb.0:
	s_load_dwordx2 s[10:11], s[6:7], 0x78
	s_load_dwordx4 s[16:19], s[6:7], 0x20
	s_load_dwordx4 s[12:15], s[6:7], 0x48
	s_mov_b64 s[2:3], src_shared_base
	s_load_dwordx2 s[4:5], s[4:5], 0x4
	s_waitcnt lgkmcnt(0)
	s_bitcmp1_b32 s11, 0
	s_cselect_b64 s[0:1], -1, 0
	s_and_b64 vcc, s[0:1], exec
	s_cselect_b32 s2, s3, s17
	s_lshr_b32 s4, s4, 16
	v_and_b32_e32 v18, 0x3ff, v0
	s_mul_i32 s4, s4, s5
	v_mul_lo_u32 v1, s4, v18
	v_bfe_u32 v2, v0, 10, 10
	v_mad_u32_u24 v1, v2, s5, v1
	v_bfe_u32 v0, v0, 20, 10
	v_add_lshl_u32 v6, v1, v0, 3
	v_mov_b32_e32 v4, s16
	v_add_u32_e32 v5, 0x3000, v6
	v_pk_mov_b32 v[0:1], s[16:17], s[16:17] op_sel:[0,1]
	v_pk_mov_b32 v[2:3], s[14:15], s[14:15] op_sel:[0,1]
	ds_write2st64_b64 v6, v[2:3], v[0:1] offset0:16 offset1:24
	v_cndmask_b32_e64 v0, v4, v5, s[0:1]
	v_mov_b32_e32 v1, s2
	flat_load_dwordx2 v[4:5], v[0:1]
	s_load_dwordx2 s[4:5], s[6:7], 0x58
	s_xor_b64 s[20:21], s[0:1], -1
	v_add_u32_e32 v0, 0x2000, v6
	v_pk_mov_b32 v[6:7], s[18:19], s[18:19] op_sel:[0,1]
	s_cbranch_vccnz .LBB24_2
; %bb.1:
	v_pk_mov_b32 v[2:3], s[16:17], s[16:17] op_sel:[0,1]
	flat_load_dwordx2 v[6:7], v[2:3] offset:8
.LBB24_2:
	s_and_b64 s[16:17], s[0:1], exec
	s_cselect_b32 s2, s3, s15
	v_mov_b32_e32 v1, s14
	v_cndmask_b32_e64 v0, v1, v0, s[0:1]
	v_mov_b32_e32 v1, s2
	flat_load_dwordx2 v[8:9], v[0:1]
	s_andn2_b64 vcc, exec, s[20:21]
	s_waitcnt lgkmcnt(0)
	v_pk_mov_b32 v[10:11], s[4:5], s[4:5] op_sel:[0,1]
	s_cbranch_vccnz .LBB24_4
; %bb.3:
	v_pk_mov_b32 v[0:1], s[14:15], s[14:15] op_sel:[0,1]
	flat_load_dwordx2 v[10:11], v[0:1] offset:8
.LBB24_4:
	s_waitcnt vmcnt(0)
	v_cmp_eq_f64_e32 vcc, 0, v[4:5]
	v_cmp_eq_f64_e64 s[0:1], 0, v[6:7]
	s_and_b64 s[4:5], vcc, s[0:1]
	s_mov_b64 s[0:1], -1
	s_and_saveexec_b64 s[2:3], s[4:5]
	s_cbranch_execz .LBB24_6
; %bb.5:
	v_cmp_neq_f64_e32 vcc, 1.0, v[8:9]
	s_waitcnt lgkmcnt(0)
	v_cmp_neq_f64_e64 s[0:1], 0, v[10:11]
	s_or_b64 s[0:1], vcc, s[0:1]
	s_orn2_b64 s[0:1], s[0:1], exec
.LBB24_6:
	s_or_b64 exec, exec, s[2:3]
	s_and_saveexec_b64 s[2:3], s[0:1]
	s_cbranch_execz .LBB24_28
; %bb.7:
	s_load_dwordx2 s[4:5], s[6:7], 0x18
	v_lshl_or_b32 v12, s8, 9, v18
	s_waitcnt lgkmcnt(0)
	v_cmp_gt_i32_e32 vcc, s5, v12
	s_and_b64 exec, exec, vcc
	s_cbranch_execz .LBB24_28
; %bb.8:
	s_load_dwordx4 s[0:3], s[6:7], 0x68
	v_ashrrev_i32_e32 v13, 31, v12
	v_lshlrev_b64 v[0:1], 2, v[12:13]
	s_waitcnt lgkmcnt(0)
	v_mov_b32_e32 v3, s1
	v_add_co_u32_e32 v2, vcc, s0, v0
	v_addc_co_u32_e32 v3, vcc, v3, v1, vcc
	global_load_dword v3, v[2:3], off
	v_mov_b32_e32 v2, s3
	v_add_co_u32_e32 v0, vcc, s2, v0
	v_addc_co_u32_e32 v1, vcc, v2, v1, vcc
	global_load_dword v2, v[0:1], off
	s_load_dwordx4 s[0:3], s[6:7], 0x0
	s_load_dwordx2 s[8:9], s[6:7], 0x38
	s_waitcnt lgkmcnt(0)
	s_cmp_eq_u32 s2, 1
	s_cselect_b64 s[14:15], -1, 0
	s_cmpk_eq_i32 s0, 0x6f
	s_cselect_b64 s[16:17], -1, 0
	s_cmpk_lg_i32 s0, 0x6f
	s_cselect_b64 s[18:19], -1, 0
	s_cmp_lg_u32 s2, 1
	s_waitcnt vmcnt(1)
	v_subrev_u32_e32 v0, s10, v3
	v_ashrrev_i32_e32 v1, 31, v0
	s_cbranch_scc0 .LBB24_12
; %bb.9:
	s_andn2_b64 vcc, exec, s[16:17]
	v_pk_mov_b32 v[14:15], v[0:1], v[0:1] op_sel:[0,1]
	s_cbranch_vccnz .LBB24_11
; %bb.10:
	v_mul_lo_u32 v3, v1, s8
	v_mul_lo_u32 v16, v0, s9
	v_mad_u64_u32 v[14:15], s[20:21], v0, s8, 0
	v_add3_u32 v15, v15, v16, v3
.LBB24_11:
	s_cbranch_execz .LBB24_13
	s_branch .LBB24_16
.LBB24_12:
                                        ; implicit-def: $vgpr14_vgpr15
.LBB24_13:
	s_andn2_b64 vcc, exec, s[18:19]
	s_cbranch_vccnz .LBB24_15
; %bb.14:
	v_mul_lo_u32 v3, v1, s8
	v_mul_lo_u32 v14, v0, s9
	v_mad_u64_u32 v[0:1], s[18:19], v0, s8, 0
	v_add3_u32 v1, v1, v14, v3
.LBB24_15:
	v_pk_mov_b32 v[14:15], v[0:1], v[0:1] op_sel:[0,1]
.LBB24_16:
	s_cmp_eq_u32 s3, 1
	s_waitcnt vmcnt(0)
	v_subrev_u32_e32 v0, s10, v2
	s_cselect_b64 s[10:11], -1, 0
	s_cmpk_eq_i32 s1, 0x6f
	s_cselect_b64 s[18:19], -1, 0
	s_cmpk_lg_i32 s1, 0x6f
	s_cselect_b64 s[0:1], -1, 0
	s_cmp_lg_u32 s3, 1
	v_ashrrev_i32_e32 v1, 31, v0
	s_cbranch_scc0 .LBB24_20
; %bb.17:
	s_andn2_b64 vcc, exec, s[0:1]
	v_pk_mov_b32 v[16:17], v[0:1], v[0:1] op_sel:[0,1]
	s_cbranch_vccnz .LBB24_19
; %bb.18:
	v_mul_lo_u32 v2, v1, s12
	v_mul_lo_u32 v3, v0, s13
	v_mad_u64_u32 v[16:17], s[0:1], v0, s12, 0
	v_add3_u32 v17, v17, v3, v2
.LBB24_19:
	s_cbranch_execz .LBB24_21
	s_branch .LBB24_24
.LBB24_20:
                                        ; implicit-def: $vgpr16_vgpr17
.LBB24_21:
	s_andn2_b64 vcc, exec, s[18:19]
	s_cbranch_vccnz .LBB24_23
; %bb.22:
	v_mul_lo_u32 v2, v1, s12
	v_mul_lo_u32 v3, v0, s13
	v_mad_u64_u32 v[0:1], s[0:1], v0, s12, 0
	v_add3_u32 v1, v1, v3, v2
.LBB24_23:
	v_pk_mov_b32 v[16:17], v[0:1], v[0:1] op_sel:[0,1]
.LBB24_24:
	s_load_dwordx2 s[0:1], s[6:7], 0x60
	v_pk_mov_b32 v[2:3], 0, 0
	s_cmp_lt_i32 s4, 1
	v_pk_mov_b32 v[0:1], v[2:3], v[2:3] op_sel:[0,1]
	s_cbranch_scc1 .LBB24_27
; %bb.25:
	s_load_dwordx2 s[20:21], s[6:7], 0x30
	s_load_dwordx2 s[2:3], s[6:7], 0x40
	v_lshlrev_b64 v[0:1], 4, v[16:17]
	s_xor_b64 s[6:7], s[16:17], s[14:15]
	s_and_b64 s[6:7], s[6:7], exec
	s_cselect_b32 s6, 1, s8
	s_waitcnt lgkmcnt(0)
	v_mov_b32_e32 v2, s3
	v_add_co_u32_e32 v0, vcc, s2, v0
	v_addc_co_u32_e32 v1, vcc, v1, v2, vcc
	s_xor_b64 s[8:9], s[18:19], s[10:11]
	v_add_co_u32_e32 v16, vcc, 8, v0
	s_and_b64 s[8:9], s[8:9], exec
	v_addc_co_u32_e32 v17, vcc, 0, v1, vcc
	v_lshlrev_b64 v[0:1], 4, v[14:15]
	s_cselect_b32 s8, s12, 1
	v_mov_b32_e32 v2, s21
	v_add_co_u32_e32 v0, vcc, s20, v0
	s_ashr_i32 s9, s8, 31
	v_addc_co_u32_e32 v1, vcc, v1, v2, vcc
	s_ashr_i32 s7, s6, 31
	s_lshl_b64 s[2:3], s[8:9], 4
	v_add_co_u32_e32 v14, vcc, 8, v0
	s_lshl_b64 s[6:7], s[6:7], 4
	v_pk_mov_b32 v[2:3], 0, 0
	v_addc_co_u32_e32 v15, vcc, 0, v1, vcc
	v_mov_b32_e32 v19, s3
	v_mov_b32_e32 v20, s7
	v_pk_mov_b32 v[0:1], v[2:3], v[2:3] op_sel:[0,1]
.LBB24_26:                              ; =>This Inner Loop Header: Depth=1
	global_load_dwordx4 v[22:25], v[16:17], off offset:-8
	global_load_dwordx4 v[26:29], v[14:15], off offset:-8
	v_add_co_u32_e32 v16, vcc, s2, v16
	v_addc_co_u32_e32 v17, vcc, v17, v19, vcc
	s_add_i32 s4, s4, -1
	v_add_co_u32_e32 v14, vcc, s6, v14
	v_addc_co_u32_e32 v15, vcc, v15, v20, vcc
	s_cmp_eq_u32 s4, 0
	s_waitcnt vmcnt(0)
	v_mul_f64 v[30:31], v[24:25], -v[28:29]
	v_mul_f64 v[24:25], v[24:25], v[26:27]
	v_fmac_f64_e32 v[30:31], v[26:27], v[22:23]
	v_fmac_f64_e32 v[24:25], v[28:29], v[22:23]
	v_add_f64 v[0:1], v[0:1], v[30:31]
	v_add_f64 v[2:3], v[2:3], v[24:25]
	s_cbranch_scc0 .LBB24_26
.LBB24_27:
	v_lshlrev_b32_e32 v14, 4, v18
	ds_write_b128 v14, v[0:3]
	v_lshlrev_b64 v[0:1], 4, v[12:13]
	s_waitcnt lgkmcnt(0)
	v_mov_b32_e32 v2, s1
	v_add_co_u32_e32 v16, vcc, s0, v0
	v_addc_co_u32_e32 v17, vcc, v2, v1, vcc
	s_barrier
	global_load_dwordx4 v[0:3], v[16:17], off
	ds_read_b128 v[12:15], v14
	s_waitcnt lgkmcnt(0)
	v_mul_f64 v[18:19], v[14:15], -v[6:7]
	v_mul_f64 v[14:15], v[4:5], v[14:15]
	v_fmac_f64_e32 v[18:19], v[4:5], v[12:13]
	v_fmac_f64_e32 v[14:15], v[6:7], v[12:13]
	s_waitcnt vmcnt(0)
	v_mul_f64 v[4:5], v[10:11], -v[2:3]
	v_mul_f64 v[6:7], v[10:11], v[0:1]
	v_fmac_f64_e32 v[4:5], v[0:1], v[8:9]
	v_fmac_f64_e32 v[6:7], v[2:3], v[8:9]
	v_add_f64 v[0:1], v[4:5], v[18:19]
	v_add_f64 v[2:3], v[6:7], v[14:15]
	global_store_dwordx4 v[16:17], v[0:3], off
.LBB24_28:
	s_endpgm
	.section	.rodata,"a",@progbits
	.p2align	6, 0x0
	.amdhsa_kernel _ZN9rocsparseL17sddmm_coox_kernelILi512ELi1ELb0E21rocsparse_complex_numIdEiiS2_S2_S2_EEv20rocsparse_operation_S3_16rocsparse_order_S4_T4_S5_S5_T3_NS_24const_host_device_scalarIT2_EEPKT5_lPKT6_lS9_PT7_PKS6_SJ_21rocsparse_index_base_b
		.amdhsa_group_segment_fixed_size 16384
		.amdhsa_private_segment_fixed_size 0
		.amdhsa_kernarg_size 128
		.amdhsa_user_sgpr_count 8
		.amdhsa_user_sgpr_private_segment_buffer 1
		.amdhsa_user_sgpr_dispatch_ptr 1
		.amdhsa_user_sgpr_queue_ptr 0
		.amdhsa_user_sgpr_kernarg_segment_ptr 1
		.amdhsa_user_sgpr_dispatch_id 0
		.amdhsa_user_sgpr_flat_scratch_init 0
		.amdhsa_user_sgpr_kernarg_preload_length 0
		.amdhsa_user_sgpr_kernarg_preload_offset 0
		.amdhsa_user_sgpr_private_segment_size 0
		.amdhsa_uses_dynamic_stack 0
		.amdhsa_system_sgpr_private_segment_wavefront_offset 0
		.amdhsa_system_sgpr_workgroup_id_x 1
		.amdhsa_system_sgpr_workgroup_id_y 0
		.amdhsa_system_sgpr_workgroup_id_z 0
		.amdhsa_system_sgpr_workgroup_info 0
		.amdhsa_system_vgpr_workitem_id 2
		.amdhsa_next_free_vgpr 32
		.amdhsa_next_free_sgpr 22
		.amdhsa_accum_offset 32
		.amdhsa_reserve_vcc 1
		.amdhsa_reserve_flat_scratch 0
		.amdhsa_float_round_mode_32 0
		.amdhsa_float_round_mode_16_64 0
		.amdhsa_float_denorm_mode_32 3
		.amdhsa_float_denorm_mode_16_64 3
		.amdhsa_dx10_clamp 1
		.amdhsa_ieee_mode 1
		.amdhsa_fp16_overflow 0
		.amdhsa_tg_split 0
		.amdhsa_exception_fp_ieee_invalid_op 0
		.amdhsa_exception_fp_denorm_src 0
		.amdhsa_exception_fp_ieee_div_zero 0
		.amdhsa_exception_fp_ieee_overflow 0
		.amdhsa_exception_fp_ieee_underflow 0
		.amdhsa_exception_fp_ieee_inexact 0
		.amdhsa_exception_int_div_zero 0
	.end_amdhsa_kernel
	.section	.text._ZN9rocsparseL17sddmm_coox_kernelILi512ELi1ELb0E21rocsparse_complex_numIdEiiS2_S2_S2_EEv20rocsparse_operation_S3_16rocsparse_order_S4_T4_S5_S5_T3_NS_24const_host_device_scalarIT2_EEPKT5_lPKT6_lS9_PT7_PKS6_SJ_21rocsparse_index_base_b,"axG",@progbits,_ZN9rocsparseL17sddmm_coox_kernelILi512ELi1ELb0E21rocsparse_complex_numIdEiiS2_S2_S2_EEv20rocsparse_operation_S3_16rocsparse_order_S4_T4_S5_S5_T3_NS_24const_host_device_scalarIT2_EEPKT5_lPKT6_lS9_PT7_PKS6_SJ_21rocsparse_index_base_b,comdat
.Lfunc_end24:
	.size	_ZN9rocsparseL17sddmm_coox_kernelILi512ELi1ELb0E21rocsparse_complex_numIdEiiS2_S2_S2_EEv20rocsparse_operation_S3_16rocsparse_order_S4_T4_S5_S5_T3_NS_24const_host_device_scalarIT2_EEPKT5_lPKT6_lS9_PT7_PKS6_SJ_21rocsparse_index_base_b, .Lfunc_end24-_ZN9rocsparseL17sddmm_coox_kernelILi512ELi1ELb0E21rocsparse_complex_numIdEiiS2_S2_S2_EEv20rocsparse_operation_S3_16rocsparse_order_S4_T4_S5_S5_T3_NS_24const_host_device_scalarIT2_EEPKT5_lPKT6_lS9_PT7_PKS6_SJ_21rocsparse_index_base_b
                                        ; -- End function
	.section	.AMDGPU.csdata,"",@progbits
; Kernel info:
; codeLenInByte = 1164
; NumSgprs: 26
; NumVgprs: 32
; NumAgprs: 0
; TotalNumVgprs: 32
; ScratchSize: 0
; MemoryBound: 0
; FloatMode: 240
; IeeeMode: 1
; LDSByteSize: 16384 bytes/workgroup (compile time only)
; SGPRBlocks: 3
; VGPRBlocks: 3
; NumSGPRsForWavesPerEU: 26
; NumVGPRsForWavesPerEU: 32
; AccumOffset: 32
; Occupancy: 8
; WaveLimiterHint : 0
; COMPUTE_PGM_RSRC2:SCRATCH_EN: 0
; COMPUTE_PGM_RSRC2:USER_SGPR: 8
; COMPUTE_PGM_RSRC2:TRAP_HANDLER: 0
; COMPUTE_PGM_RSRC2:TGID_X_EN: 1
; COMPUTE_PGM_RSRC2:TGID_Y_EN: 0
; COMPUTE_PGM_RSRC2:TGID_Z_EN: 0
; COMPUTE_PGM_RSRC2:TIDIG_COMP_CNT: 2
; COMPUTE_PGM_RSRC3_GFX90A:ACCUM_OFFSET: 7
; COMPUTE_PGM_RSRC3_GFX90A:TG_SPLIT: 0
	.section	.text._ZN9rocsparseL24sddmm_coox_sample_kernelILi512ELb0EDF16_llDF16_EEvT3_S1_T2_PKT4_S1_PS3_PKS2_S8_21rocsparse_index_base_,"axG",@progbits,_ZN9rocsparseL24sddmm_coox_sample_kernelILi512ELb0EDF16_llDF16_EEvT3_S1_T2_PKT4_S1_PS3_PKS2_S8_21rocsparse_index_base_,comdat
	.globl	_ZN9rocsparseL24sddmm_coox_sample_kernelILi512ELb0EDF16_llDF16_EEvT3_S1_T2_PKT4_S1_PS3_PKS2_S8_21rocsparse_index_base_ ; -- Begin function _ZN9rocsparseL24sddmm_coox_sample_kernelILi512ELb0EDF16_llDF16_EEvT3_S1_T2_PKT4_S1_PS3_PKS2_S8_21rocsparse_index_base_
	.p2align	8
	.type	_ZN9rocsparseL24sddmm_coox_sample_kernelILi512ELb0EDF16_llDF16_EEvT3_S1_T2_PKT4_S1_PS3_PKS2_S8_21rocsparse_index_base_,@function
_ZN9rocsparseL24sddmm_coox_sample_kernelILi512ELb0EDF16_llDF16_EEvT3_S1_T2_PKT4_S1_PS3_PKS2_S8_21rocsparse_index_base_: ; @_ZN9rocsparseL24sddmm_coox_sample_kernelILi512ELb0EDF16_llDF16_EEvT3_S1_T2_PKT4_S1_PS3_PKS2_S8_21rocsparse_index_base_
; %bb.0:
	s_load_dwordx2 s[2:3], s[4:5], 0x10
	v_lshl_or_b32 v0, s6, 9, v0
	v_mov_b32_e32 v1, 0
	s_waitcnt lgkmcnt(0)
	v_cmp_gt_i64_e32 vcc, s[2:3], v[0:1]
	s_and_saveexec_b64 s[0:1], vcc
	s_cbranch_execz .LBB25_3
; %bb.1:
	s_load_dword s0, s[4:5], 0x48
	s_load_dwordx2 s[6:7], s[4:5], 0x38
	s_load_dword s16, s[4:5], 0x40
	s_load_dwordx8 s[8:15], s[4:5], 0x18
	s_mov_b32 s1, 0
	s_waitcnt lgkmcnt(0)
	s_lshl_b32 s17, s0, 9
	v_pk_mov_b32 v[2:3], v[0:1], v[0:1] op_sel:[0,1]
	v_add_u32_e32 v0, s17, v0
	s_mov_b64 s[4:5], 0
	v_mov_b32_e32 v4, s15
	v_mov_b32_e32 v5, s1
	;; [unrolled: 1-line block ×5, first 2 shown]
.LBB25_2:                               ; =>This Inner Loop Header: Depth=1
	v_lshlrev_b64 v[10:11], 3, v[2:3]
	v_add_co_u32_e32 v12, vcc, s14, v10
	v_addc_co_u32_e32 v13, vcc, v4, v11, vcc
	v_add_co_u32_e32 v10, vcc, s6, v10
	v_addc_co_u32_e32 v11, vcc, v6, v11, vcc
	global_load_dwordx2 v[14:15], v[10:11], off
	global_load_dwordx2 v[16:17], v[12:13], off
	s_waitcnt vmcnt(0)
	v_subrev_co_u32_e32 v10, vcc, s16, v16
	v_subb_co_u32_e32 v11, vcc, v17, v5, vcc
	v_subrev_co_u32_e32 v9, vcc, s16, v14
	v_subb_co_u32_e32 v12, vcc, v15, v5, vcc
	v_mul_lo_u32 v14, v12, s10
	v_mul_lo_u32 v15, v9, s11
	v_mad_u64_u32 v[12:13], s[0:1], v9, s10, 0
	v_add3_u32 v13, v13, v15, v14
	v_lshlrev_b64 v[12:13], 1, v[12:13]
	v_add_co_u32_e32 v9, vcc, s8, v12
	v_lshlrev_b64 v[10:11], 1, v[10:11]
	v_addc_co_u32_e32 v12, vcc, v7, v13, vcc
	v_add_co_u32_e32 v10, vcc, v9, v10
	v_addc_co_u32_e32 v11, vcc, v12, v11, vcc
	global_load_ushort v9, v[10:11], off
	v_lshlrev_b64 v[10:11], 1, v[2:3]
	v_cmp_le_u64_e32 vcc, s[2:3], v[0:1]
	v_add_co_u32_e64 v10, s[0:1], s12, v10
	v_pk_mov_b32 v[2:3], v[0:1], v[0:1] op_sel:[0,1]
	v_add_u32_e32 v0, s17, v0
	v_addc_co_u32_e64 v11, s[0:1], v8, v11, s[0:1]
	s_or_b64 s[4:5], vcc, s[4:5]
	s_waitcnt vmcnt(0)
	global_store_short v[10:11], v9, off
	s_andn2_b64 exec, exec, s[4:5]
	s_cbranch_execnz .LBB25_2
.LBB25_3:
	s_endpgm
	.section	.rodata,"a",@progbits
	.p2align	6, 0x0
	.amdhsa_kernel _ZN9rocsparseL24sddmm_coox_sample_kernelILi512ELb0EDF16_llDF16_EEvT3_S1_T2_PKT4_S1_PS3_PKS2_S8_21rocsparse_index_base_
		.amdhsa_group_segment_fixed_size 0
		.amdhsa_private_segment_fixed_size 0
		.amdhsa_kernarg_size 328
		.amdhsa_user_sgpr_count 6
		.amdhsa_user_sgpr_private_segment_buffer 1
		.amdhsa_user_sgpr_dispatch_ptr 0
		.amdhsa_user_sgpr_queue_ptr 0
		.amdhsa_user_sgpr_kernarg_segment_ptr 1
		.amdhsa_user_sgpr_dispatch_id 0
		.amdhsa_user_sgpr_flat_scratch_init 0
		.amdhsa_user_sgpr_kernarg_preload_length 0
		.amdhsa_user_sgpr_kernarg_preload_offset 0
		.amdhsa_user_sgpr_private_segment_size 0
		.amdhsa_uses_dynamic_stack 0
		.amdhsa_system_sgpr_private_segment_wavefront_offset 0
		.amdhsa_system_sgpr_workgroup_id_x 1
		.amdhsa_system_sgpr_workgroup_id_y 0
		.amdhsa_system_sgpr_workgroup_id_z 0
		.amdhsa_system_sgpr_workgroup_info 0
		.amdhsa_system_vgpr_workitem_id 0
		.amdhsa_next_free_vgpr 18
		.amdhsa_next_free_sgpr 18
		.amdhsa_accum_offset 20
		.amdhsa_reserve_vcc 1
		.amdhsa_reserve_flat_scratch 0
		.amdhsa_float_round_mode_32 0
		.amdhsa_float_round_mode_16_64 0
		.amdhsa_float_denorm_mode_32 3
		.amdhsa_float_denorm_mode_16_64 3
		.amdhsa_dx10_clamp 1
		.amdhsa_ieee_mode 1
		.amdhsa_fp16_overflow 0
		.amdhsa_tg_split 0
		.amdhsa_exception_fp_ieee_invalid_op 0
		.amdhsa_exception_fp_denorm_src 0
		.amdhsa_exception_fp_ieee_div_zero 0
		.amdhsa_exception_fp_ieee_overflow 0
		.amdhsa_exception_fp_ieee_underflow 0
		.amdhsa_exception_fp_ieee_inexact 0
		.amdhsa_exception_int_div_zero 0
	.end_amdhsa_kernel
	.section	.text._ZN9rocsparseL24sddmm_coox_sample_kernelILi512ELb0EDF16_llDF16_EEvT3_S1_T2_PKT4_S1_PS3_PKS2_S8_21rocsparse_index_base_,"axG",@progbits,_ZN9rocsparseL24sddmm_coox_sample_kernelILi512ELb0EDF16_llDF16_EEvT3_S1_T2_PKT4_S1_PS3_PKS2_S8_21rocsparse_index_base_,comdat
.Lfunc_end25:
	.size	_ZN9rocsparseL24sddmm_coox_sample_kernelILi512ELb0EDF16_llDF16_EEvT3_S1_T2_PKT4_S1_PS3_PKS2_S8_21rocsparse_index_base_, .Lfunc_end25-_ZN9rocsparseL24sddmm_coox_sample_kernelILi512ELb0EDF16_llDF16_EEvT3_S1_T2_PKT4_S1_PS3_PKS2_S8_21rocsparse_index_base_
                                        ; -- End function
	.section	.AMDGPU.csdata,"",@progbits
; Kernel info:
; codeLenInByte = 316
; NumSgprs: 22
; NumVgprs: 18
; NumAgprs: 0
; TotalNumVgprs: 18
; ScratchSize: 0
; MemoryBound: 0
; FloatMode: 240
; IeeeMode: 1
; LDSByteSize: 0 bytes/workgroup (compile time only)
; SGPRBlocks: 2
; VGPRBlocks: 2
; NumSGPRsForWavesPerEU: 22
; NumVGPRsForWavesPerEU: 18
; AccumOffset: 20
; Occupancy: 8
; WaveLimiterHint : 1
; COMPUTE_PGM_RSRC2:SCRATCH_EN: 0
; COMPUTE_PGM_RSRC2:USER_SGPR: 6
; COMPUTE_PGM_RSRC2:TRAP_HANDLER: 0
; COMPUTE_PGM_RSRC2:TGID_X_EN: 1
; COMPUTE_PGM_RSRC2:TGID_Y_EN: 0
; COMPUTE_PGM_RSRC2:TGID_Z_EN: 0
; COMPUTE_PGM_RSRC2:TIDIG_COMP_CNT: 0
; COMPUTE_PGM_RSRC3_GFX90A:ACCUM_OFFSET: 4
; COMPUTE_PGM_RSRC3_GFX90A:TG_SPLIT: 0
	.section	.text._ZN9rocsparseL17sddmm_coox_kernelILi512ELi8ELb0EDF16_llDF16_DF16_DF16_EEv20rocsparse_operation_S1_16rocsparse_order_S2_T4_S3_S3_T3_NS_24const_host_device_scalarIT2_EEPKT5_lPKT6_lS7_PT7_PKS4_SH_21rocsparse_index_base_b,"axG",@progbits,_ZN9rocsparseL17sddmm_coox_kernelILi512ELi8ELb0EDF16_llDF16_DF16_DF16_EEv20rocsparse_operation_S1_16rocsparse_order_S2_T4_S3_S3_T3_NS_24const_host_device_scalarIT2_EEPKT5_lPKT6_lS7_PT7_PKS4_SH_21rocsparse_index_base_b,comdat
	.globl	_ZN9rocsparseL17sddmm_coox_kernelILi512ELi8ELb0EDF16_llDF16_DF16_DF16_EEv20rocsparse_operation_S1_16rocsparse_order_S2_T4_S3_S3_T3_NS_24const_host_device_scalarIT2_EEPKT5_lPKT6_lS7_PT7_PKS4_SH_21rocsparse_index_base_b ; -- Begin function _ZN9rocsparseL17sddmm_coox_kernelILi512ELi8ELb0EDF16_llDF16_DF16_DF16_EEv20rocsparse_operation_S1_16rocsparse_order_S2_T4_S3_S3_T3_NS_24const_host_device_scalarIT2_EEPKT5_lPKT6_lS7_PT7_PKS4_SH_21rocsparse_index_base_b
	.p2align	8
	.type	_ZN9rocsparseL17sddmm_coox_kernelILi512ELi8ELb0EDF16_llDF16_DF16_DF16_EEv20rocsparse_operation_S1_16rocsparse_order_S2_T4_S3_S3_T3_NS_24const_host_device_scalarIT2_EEPKT5_lPKT6_lS7_PT7_PKS4_SH_21rocsparse_index_base_b,@function
_ZN9rocsparseL17sddmm_coox_kernelILi512ELi8ELb0EDF16_llDF16_DF16_DF16_EEv20rocsparse_operation_S1_16rocsparse_order_S2_T4_S3_S3_T3_NS_24const_host_device_scalarIT2_EEPKT5_lPKT6_lS7_PT7_PKS4_SH_21rocsparse_index_base_b: ; @_ZN9rocsparseL17sddmm_coox_kernelILi512ELi8ELb0EDF16_llDF16_DF16_DF16_EEv20rocsparse_operation_S1_16rocsparse_order_S2_T4_S3_S3_T3_NS_24const_host_device_scalarIT2_EEPKT5_lPKT6_lS7_PT7_PKS4_SH_21rocsparse_index_base_b
; %bb.0:
	s_load_dwordx2 s[16:17], s[4:5], 0x78
	s_load_dwordx2 s[2:3], s[4:5], 0x30
	s_load_dwordx4 s[8:11], s[4:5], 0x50
	s_waitcnt lgkmcnt(0)
	s_bitcmp1_b32 s17, 0
	s_cselect_b64 s[12:13], -1, 0
	s_xor_b64 s[0:1], s[12:13], -1
	s_and_b64 vcc, exec, s[12:13]
	v_mov_b32_e32 v10, s2
	s_cbranch_vccnz .LBB26_2
; %bb.1:
	v_mov_b32_e32 v1, 0
	global_load_ushort v10, v1, s[2:3]
.LBB26_2:
	s_andn2_b64 vcc, exec, s[0:1]
	v_mov_b32_e32 v11, s10
	s_cbranch_vccnz .LBB26_4
; %bb.3:
	v_mov_b32_e32 v1, 0
	global_load_ushort v11, v1, s[10:11]
.LBB26_4:
	s_waitcnt vmcnt(0)
	v_cmp_eq_f16_e32 vcc, 0, v10
	v_cmp_eq_f16_e64 s[0:1], 1.0, v11
	s_and_b64 s[0:1], vcc, s[0:1]
	s_and_b64 vcc, exec, s[0:1]
	s_cbranch_vccnz .LBB26_34
; %bb.5:
	s_load_dwordx4 s[0:3], s[4:5], 0x20
	v_lshrrev_b32_e32 v12, 3, v0
	v_lshl_or_b32 v2, s6, 6, v12
	v_mov_b32_e32 v3, 0
	s_waitcnt lgkmcnt(0)
	v_cmp_gt_i64_e32 vcc, s[2:3], v[2:3]
	s_and_saveexec_b64 s[2:3], vcc
	s_cbranch_execz .LBB26_34
; %bb.6:
	s_load_dwordx4 s[12:15], s[4:5], 0x68
	v_lshlrev_b64 v[4:5], 3, v[2:3]
	s_mov_b32 s17, 0
	s_waitcnt lgkmcnt(0)
	v_mov_b32_e32 v1, s13
	v_add_co_u32_e32 v6, vcc, s12, v4
	v_addc_co_u32_e32 v7, vcc, v1, v5, vcc
	global_load_dwordx2 v[8:9], v[6:7], off
	v_mov_b32_e32 v1, s15
	v_add_co_u32_e32 v4, vcc, s14, v4
	v_addc_co_u32_e32 v5, vcc, v1, v5, vcc
	global_load_dwordx2 v[6:7], v[4:5], off
	s_load_dwordx4 s[12:15], s[4:5], 0x0
	s_load_dwordx2 s[6:7], s[4:5], 0x40
	s_waitcnt lgkmcnt(0)
	s_cmp_eq_u32 s14, 1
	s_cselect_b64 s[10:11], -1, 0
	s_cmpk_eq_i32 s12, 0x6f
	s_cselect_b64 s[18:19], -1, 0
	s_cmpk_lg_i32 s12, 0x6f
	s_cselect_b64 s[2:3], -1, 0
	s_cmp_lg_u32 s14, 1
	s_waitcnt vmcnt(1)
	v_subrev_co_u32_e32 v8, vcc, s16, v8
	v_subbrev_co_u32_e32 v9, vcc, 0, v9, vcc
	s_cbranch_scc0 .LBB26_10
; %bb.7:
	s_andn2_b64 vcc, exec, s[18:19]
	v_pk_mov_b32 v[4:5], v[8:9], v[8:9] op_sel:[0,1]
	s_cbranch_vccnz .LBB26_9
; %bb.8:
	v_mul_lo_u32 v1, v9, s6
	v_mul_lo_u32 v13, v8, s7
	v_mad_u64_u32 v[4:5], s[20:21], v8, s6, 0
	v_add3_u32 v5, v5, v13, v1
.LBB26_9:
	s_cbranch_execz .LBB26_11
	s_branch .LBB26_14
.LBB26_10:
                                        ; implicit-def: $vgpr4_vgpr5
.LBB26_11:
	s_andn2_b64 vcc, exec, s[2:3]
	s_cbranch_vccnz .LBB26_13
; %bb.12:
	v_mul_lo_u32 v1, v9, s6
	v_mul_lo_u32 v4, v8, s7
	v_mad_u64_u32 v[8:9], s[2:3], v8, s6, 0
	v_add3_u32 v9, v9, v4, v1
.LBB26_13:
	v_pk_mov_b32 v[4:5], v[8:9], v[8:9] op_sel:[0,1]
.LBB26_14:
	s_cmp_eq_u32 s15, 1
	s_cselect_b64 s[20:21], -1, 0
	s_cmpk_eq_i32 s13, 0x6f
	v_mov_b32_e32 v1, s17
	s_cselect_b64 s[22:23], -1, 0
	s_cmpk_lg_i32 s13, 0x6f
	s_waitcnt vmcnt(0)
	v_subrev_co_u32_e32 v8, vcc, s16, v6
	s_cselect_b64 s[2:3], -1, 0
	s_cmp_lg_u32 s15, 1
	v_subb_co_u32_e32 v9, vcc, v7, v1, vcc
	s_cbranch_scc0 .LBB26_18
; %bb.15:
	s_andn2_b64 vcc, exec, s[2:3]
	v_pk_mov_b32 v[6:7], v[8:9], v[8:9] op_sel:[0,1]
	s_cbranch_vccnz .LBB26_17
; %bb.16:
	v_mul_lo_u32 v1, v9, s8
	v_mul_lo_u32 v13, v8, s9
	v_mad_u64_u32 v[6:7], s[2:3], v8, s8, 0
	v_add3_u32 v7, v7, v13, v1
.LBB26_17:
	s_cbranch_execz .LBB26_19
	s_branch .LBB26_22
.LBB26_18:
                                        ; implicit-def: $vgpr6_vgpr7
.LBB26_19:
	s_andn2_b64 vcc, exec, s[22:23]
	s_cbranch_vccnz .LBB26_21
; %bb.20:
	v_mul_lo_u32 v1, v9, s8
	v_mul_lo_u32 v6, v8, s9
	v_mad_u64_u32 v[8:9], s[2:3], v8, s8, 0
	v_add3_u32 v9, v9, v6, v1
.LBB26_21:
	v_pk_mov_b32 v[6:7], v[8:9], v[8:9] op_sel:[0,1]
.LBB26_22:
	s_load_dwordx2 s[2:3], s[4:5], 0x60
	v_and_b32_e32 v0, 7, v0
	v_mov_b32_e32 v1, 0
	v_cmp_gt_i64_e32 vcc, s[0:1], v[0:1]
	s_and_saveexec_b64 s[12:13], vcc
	s_cbranch_execz .LBB26_26
; %bb.23:
	s_load_dwordx2 s[14:15], s[4:5], 0x38
	s_load_dwordx2 s[16:17], s[4:5], 0x48
	s_xor_b64 s[4:5], s[18:19], s[10:11]
	s_and_b64 s[4:5], s[4:5], exec
	s_cselect_b32 s7, 0, s7
	s_cselect_b32 s6, 1, s6
	s_xor_b64 s[4:5], s[22:23], s[20:21]
	s_and_b64 s[4:5], s[4:5], exec
	s_cselect_b32 s4, s8, 1
	s_cselect_b32 s5, s9, 0
	v_mad_u64_u32 v[8:9], s[8:9], s4, v0, 0
	v_mov_b32_e32 v14, v9
	v_mad_u64_u32 v[14:15], s[8:9], s5, v0, v[14:15]
	v_mov_b32_e32 v9, v14
	v_lshlrev_b64 v[8:9], 1, v[8:9]
	v_lshlrev_b64 v[6:7], 1, v[6:7]
	v_add_co_u32_e32 v6, vcc, v8, v6
	v_addc_co_u32_e32 v7, vcc, v9, v7, vcc
	s_waitcnt lgkmcnt(0)
	v_mov_b32_e32 v8, s17
	v_add_co_u32_e32 v6, vcc, s16, v6
	v_addc_co_u32_e32 v7, vcc, v8, v7, vcc
	v_mad_u64_u32 v[8:9], s[8:9], s6, v0, 0
	v_mov_b32_e32 v14, v9
	v_mad_u64_u32 v[14:15], s[8:9], s7, v0, v[14:15]
	v_mov_b32_e32 v9, v14
	v_lshlrev_b64 v[8:9], 1, v[8:9]
	v_lshlrev_b64 v[4:5], 1, v[4:5]
	v_add_co_u32_e32 v4, vcc, v8, v4
	v_addc_co_u32_e32 v5, vcc, v9, v5, vcc
	s_lshl_b64 s[4:5], s[4:5], 4
	v_mov_b32_e32 v8, s15
	v_add_co_u32_e32 v4, vcc, s14, v4
	s_lshl_b64 s[8:9], s[6:7], 4
	v_mov_b32_e32 v15, 0
	v_addc_co_u32_e32 v5, vcc, v8, v5, vcc
	s_mov_b64 s[6:7], 0
	v_mov_b32_e32 v13, s5
	v_mov_b32_e32 v14, s9
	v_pk_mov_b32 v[8:9], v[0:1], v[0:1] op_sel:[0,1]
	v_mov_b32_e32 v1, v15
.LBB26_24:                              ; =>This Inner Loop Header: Depth=1
	global_load_ushort v15, v[4:5], off
	global_load_ushort v16, v[6:7], off
	v_add_co_u32_e32 v8, vcc, 8, v8
	v_addc_co_u32_e32 v9, vcc, 0, v9, vcc
	v_add_co_u32_e32 v6, vcc, s4, v6
	v_addc_co_u32_e32 v7, vcc, v7, v13, vcc
	;; [unrolled: 2-line block ×3, first 2 shown]
	v_cmp_le_i64_e32 vcc, s[0:1], v[8:9]
	s_or_b64 s[6:7], vcc, s[6:7]
	s_waitcnt vmcnt(0)
	v_fma_f16 v1, v15, v16, v1
	s_andn2_b64 exec, exec, s[6:7]
	s_cbranch_execnz .LBB26_24
; %bb.25:
	s_or_b64 exec, exec, s[6:7]
.LBB26_26:
	s_or_b64 exec, exec, s[12:13]
	v_lshlrev_b32_e32 v4, 1, v0
	v_lshl_or_b32 v4, v12, 4, v4
	v_cmp_gt_u32_e32 vcc, 4, v0
	ds_write_b16 v4, v1
	s_waitcnt lgkmcnt(0)
	s_barrier
	s_and_saveexec_b64 s[0:1], vcc
	s_cbranch_execz .LBB26_28
; %bb.27:
	ds_read_u16 v1, v4
	ds_read_u16 v5, v4 offset:8
	s_waitcnt lgkmcnt(0)
	v_add_f16_e32 v1, v5, v1
	ds_write_b16 v4, v1
.LBB26_28:
	s_or_b64 exec, exec, s[0:1]
	v_cmp_gt_u32_e32 vcc, 2, v0
	s_waitcnt lgkmcnt(0)
	s_barrier
	s_and_saveexec_b64 s[0:1], vcc
	s_cbranch_execz .LBB26_30
; %bb.29:
	ds_read_u16 v1, v4
	ds_read_u16 v5, v4 offset:4
	s_waitcnt lgkmcnt(0)
	v_add_f16_e32 v1, v5, v1
	ds_write_b16 v4, v1
.LBB26_30:
	s_or_b64 exec, exec, s[0:1]
	v_cmp_eq_u32_e32 vcc, 0, v0
	v_lshlrev_b32_e32 v0, 4, v12
	s_waitcnt lgkmcnt(0)
	s_barrier
	s_and_saveexec_b64 s[0:1], vcc
	s_cbranch_execz .LBB26_32
; %bb.31:
	ds_read_u16 v1, v0 offset:2
	ds_read_u16 v5, v4
	s_waitcnt lgkmcnt(0)
	v_add_f16_e32 v1, v1, v5
	ds_write_b16 v4, v1
.LBB26_32:
	s_or_b64 exec, exec, s[0:1]
	s_waitcnt lgkmcnt(0)
	s_barrier
	s_and_b64 exec, exec, vcc
	s_cbranch_execz .LBB26_34
; %bb.33:
	v_lshlrev_b64 v[2:3], 1, v[2:3]
	v_mov_b32_e32 v1, s3
	v_add_co_u32_e32 v2, vcc, s2, v2
	v_addc_co_u32_e32 v3, vcc, v1, v3, vcc
	global_load_ushort v1, v[2:3], off
	ds_read_u16 v0, v0
	s_waitcnt lgkmcnt(0)
	v_mul_f16_e32 v0, v10, v0
	s_waitcnt vmcnt(0)
	v_fma_f16 v0, v11, v1, v0
	global_store_short v[2:3], v0, off
.LBB26_34:
	s_endpgm
	.section	.rodata,"a",@progbits
	.p2align	6, 0x0
	.amdhsa_kernel _ZN9rocsparseL17sddmm_coox_kernelILi512ELi8ELb0EDF16_llDF16_DF16_DF16_EEv20rocsparse_operation_S1_16rocsparse_order_S2_T4_S3_S3_T3_NS_24const_host_device_scalarIT2_EEPKT5_lPKT6_lS7_PT7_PKS4_SH_21rocsparse_index_base_b
		.amdhsa_group_segment_fixed_size 1024
		.amdhsa_private_segment_fixed_size 0
		.amdhsa_kernarg_size 128
		.amdhsa_user_sgpr_count 6
		.amdhsa_user_sgpr_private_segment_buffer 1
		.amdhsa_user_sgpr_dispatch_ptr 0
		.amdhsa_user_sgpr_queue_ptr 0
		.amdhsa_user_sgpr_kernarg_segment_ptr 1
		.amdhsa_user_sgpr_dispatch_id 0
		.amdhsa_user_sgpr_flat_scratch_init 0
		.amdhsa_user_sgpr_kernarg_preload_length 0
		.amdhsa_user_sgpr_kernarg_preload_offset 0
		.amdhsa_user_sgpr_private_segment_size 0
		.amdhsa_uses_dynamic_stack 0
		.amdhsa_system_sgpr_private_segment_wavefront_offset 0
		.amdhsa_system_sgpr_workgroup_id_x 1
		.amdhsa_system_sgpr_workgroup_id_y 0
		.amdhsa_system_sgpr_workgroup_id_z 0
		.amdhsa_system_sgpr_workgroup_info 0
		.amdhsa_system_vgpr_workitem_id 0
		.amdhsa_next_free_vgpr 17
		.amdhsa_next_free_sgpr 24
		.amdhsa_accum_offset 20
		.amdhsa_reserve_vcc 1
		.amdhsa_reserve_flat_scratch 0
		.amdhsa_float_round_mode_32 0
		.amdhsa_float_round_mode_16_64 0
		.amdhsa_float_denorm_mode_32 3
		.amdhsa_float_denorm_mode_16_64 3
		.amdhsa_dx10_clamp 1
		.amdhsa_ieee_mode 1
		.amdhsa_fp16_overflow 0
		.amdhsa_tg_split 0
		.amdhsa_exception_fp_ieee_invalid_op 0
		.amdhsa_exception_fp_denorm_src 0
		.amdhsa_exception_fp_ieee_div_zero 0
		.amdhsa_exception_fp_ieee_overflow 0
		.amdhsa_exception_fp_ieee_underflow 0
		.amdhsa_exception_fp_ieee_inexact 0
		.amdhsa_exception_int_div_zero 0
	.end_amdhsa_kernel
	.section	.text._ZN9rocsparseL17sddmm_coox_kernelILi512ELi8ELb0EDF16_llDF16_DF16_DF16_EEv20rocsparse_operation_S1_16rocsparse_order_S2_T4_S3_S3_T3_NS_24const_host_device_scalarIT2_EEPKT5_lPKT6_lS7_PT7_PKS4_SH_21rocsparse_index_base_b,"axG",@progbits,_ZN9rocsparseL17sddmm_coox_kernelILi512ELi8ELb0EDF16_llDF16_DF16_DF16_EEv20rocsparse_operation_S1_16rocsparse_order_S2_T4_S3_S3_T3_NS_24const_host_device_scalarIT2_EEPKT5_lPKT6_lS7_PT7_PKS4_SH_21rocsparse_index_base_b,comdat
.Lfunc_end26:
	.size	_ZN9rocsparseL17sddmm_coox_kernelILi512ELi8ELb0EDF16_llDF16_DF16_DF16_EEv20rocsparse_operation_S1_16rocsparse_order_S2_T4_S3_S3_T3_NS_24const_host_device_scalarIT2_EEPKT5_lPKT6_lS7_PT7_PKS4_SH_21rocsparse_index_base_b, .Lfunc_end26-_ZN9rocsparseL17sddmm_coox_kernelILi512ELi8ELb0EDF16_llDF16_DF16_DF16_EEv20rocsparse_operation_S1_16rocsparse_order_S2_T4_S3_S3_T3_NS_24const_host_device_scalarIT2_EEPKT5_lPKT6_lS7_PT7_PKS4_SH_21rocsparse_index_base_b
                                        ; -- End function
	.section	.AMDGPU.csdata,"",@progbits
; Kernel info:
; codeLenInByte = 1128
; NumSgprs: 28
; NumVgprs: 17
; NumAgprs: 0
; TotalNumVgprs: 17
; ScratchSize: 0
; MemoryBound: 0
; FloatMode: 240
; IeeeMode: 1
; LDSByteSize: 1024 bytes/workgroup (compile time only)
; SGPRBlocks: 3
; VGPRBlocks: 2
; NumSGPRsForWavesPerEU: 28
; NumVGPRsForWavesPerEU: 17
; AccumOffset: 20
; Occupancy: 8
; WaveLimiterHint : 0
; COMPUTE_PGM_RSRC2:SCRATCH_EN: 0
; COMPUTE_PGM_RSRC2:USER_SGPR: 6
; COMPUTE_PGM_RSRC2:TRAP_HANDLER: 0
; COMPUTE_PGM_RSRC2:TGID_X_EN: 1
; COMPUTE_PGM_RSRC2:TGID_Y_EN: 0
; COMPUTE_PGM_RSRC2:TGID_Z_EN: 0
; COMPUTE_PGM_RSRC2:TIDIG_COMP_CNT: 0
; COMPUTE_PGM_RSRC3_GFX90A:ACCUM_OFFSET: 4
; COMPUTE_PGM_RSRC3_GFX90A:TG_SPLIT: 0
	.section	.text._ZN9rocsparseL17sddmm_coox_kernelILi512ELi4ELb0EDF16_llDF16_DF16_DF16_EEv20rocsparse_operation_S1_16rocsparse_order_S2_T4_S3_S3_T3_NS_24const_host_device_scalarIT2_EEPKT5_lPKT6_lS7_PT7_PKS4_SH_21rocsparse_index_base_b,"axG",@progbits,_ZN9rocsparseL17sddmm_coox_kernelILi512ELi4ELb0EDF16_llDF16_DF16_DF16_EEv20rocsparse_operation_S1_16rocsparse_order_S2_T4_S3_S3_T3_NS_24const_host_device_scalarIT2_EEPKT5_lPKT6_lS7_PT7_PKS4_SH_21rocsparse_index_base_b,comdat
	.globl	_ZN9rocsparseL17sddmm_coox_kernelILi512ELi4ELb0EDF16_llDF16_DF16_DF16_EEv20rocsparse_operation_S1_16rocsparse_order_S2_T4_S3_S3_T3_NS_24const_host_device_scalarIT2_EEPKT5_lPKT6_lS7_PT7_PKS4_SH_21rocsparse_index_base_b ; -- Begin function _ZN9rocsparseL17sddmm_coox_kernelILi512ELi4ELb0EDF16_llDF16_DF16_DF16_EEv20rocsparse_operation_S1_16rocsparse_order_S2_T4_S3_S3_T3_NS_24const_host_device_scalarIT2_EEPKT5_lPKT6_lS7_PT7_PKS4_SH_21rocsparse_index_base_b
	.p2align	8
	.type	_ZN9rocsparseL17sddmm_coox_kernelILi512ELi4ELb0EDF16_llDF16_DF16_DF16_EEv20rocsparse_operation_S1_16rocsparse_order_S2_T4_S3_S3_T3_NS_24const_host_device_scalarIT2_EEPKT5_lPKT6_lS7_PT7_PKS4_SH_21rocsparse_index_base_b,@function
_ZN9rocsparseL17sddmm_coox_kernelILi512ELi4ELb0EDF16_llDF16_DF16_DF16_EEv20rocsparse_operation_S1_16rocsparse_order_S2_T4_S3_S3_T3_NS_24const_host_device_scalarIT2_EEPKT5_lPKT6_lS7_PT7_PKS4_SH_21rocsparse_index_base_b: ; @_ZN9rocsparseL17sddmm_coox_kernelILi512ELi4ELb0EDF16_llDF16_DF16_DF16_EEv20rocsparse_operation_S1_16rocsparse_order_S2_T4_S3_S3_T3_NS_24const_host_device_scalarIT2_EEPKT5_lPKT6_lS7_PT7_PKS4_SH_21rocsparse_index_base_b
; %bb.0:
	s_load_dwordx2 s[16:17], s[4:5], 0x78
	s_load_dwordx2 s[2:3], s[4:5], 0x30
	s_load_dwordx4 s[8:11], s[4:5], 0x50
	s_waitcnt lgkmcnt(0)
	s_bitcmp1_b32 s17, 0
	s_cselect_b64 s[12:13], -1, 0
	s_xor_b64 s[0:1], s[12:13], -1
	s_and_b64 vcc, exec, s[12:13]
	v_mov_b32_e32 v10, s2
	s_cbranch_vccnz .LBB27_2
; %bb.1:
	v_mov_b32_e32 v1, 0
	global_load_ushort v10, v1, s[2:3]
.LBB27_2:
	s_andn2_b64 vcc, exec, s[0:1]
	v_mov_b32_e32 v11, s10
	s_cbranch_vccnz .LBB27_4
; %bb.3:
	v_mov_b32_e32 v1, 0
	global_load_ushort v11, v1, s[10:11]
.LBB27_4:
	s_waitcnt vmcnt(0)
	v_cmp_eq_f16_e32 vcc, 0, v10
	v_cmp_eq_f16_e64 s[0:1], 1.0, v11
	s_and_b64 s[0:1], vcc, s[0:1]
	s_and_b64 vcc, exec, s[0:1]
	s_cbranch_vccnz .LBB27_32
; %bb.5:
	s_load_dwordx4 s[0:3], s[4:5], 0x20
	v_lshrrev_b32_e32 v12, 2, v0
	v_lshl_or_b32 v2, s6, 7, v12
	v_mov_b32_e32 v3, 0
	s_waitcnt lgkmcnt(0)
	v_cmp_gt_i64_e32 vcc, s[2:3], v[2:3]
	s_and_saveexec_b64 s[2:3], vcc
	s_cbranch_execz .LBB27_32
; %bb.6:
	s_load_dwordx4 s[12:15], s[4:5], 0x68
	v_lshlrev_b64 v[4:5], 3, v[2:3]
	s_mov_b32 s17, 0
	s_waitcnt lgkmcnt(0)
	v_mov_b32_e32 v1, s13
	v_add_co_u32_e32 v6, vcc, s12, v4
	v_addc_co_u32_e32 v7, vcc, v1, v5, vcc
	global_load_dwordx2 v[8:9], v[6:7], off
	v_mov_b32_e32 v1, s15
	v_add_co_u32_e32 v4, vcc, s14, v4
	v_addc_co_u32_e32 v5, vcc, v1, v5, vcc
	global_load_dwordx2 v[6:7], v[4:5], off
	s_load_dwordx4 s[12:15], s[4:5], 0x0
	s_load_dwordx2 s[2:3], s[4:5], 0x40
	s_waitcnt lgkmcnt(0)
	s_cmp_eq_u32 s14, 1
	s_cselect_b64 s[10:11], -1, 0
	s_cmpk_eq_i32 s12, 0x6f
	s_cselect_b64 s[18:19], -1, 0
	s_cmpk_lg_i32 s12, 0x6f
	s_cselect_b64 s[6:7], -1, 0
	s_cmp_lg_u32 s14, 1
	s_waitcnt vmcnt(1)
	v_subrev_co_u32_e32 v8, vcc, s16, v8
	v_subbrev_co_u32_e32 v9, vcc, 0, v9, vcc
	s_cbranch_scc0 .LBB27_10
; %bb.7:
	s_andn2_b64 vcc, exec, s[18:19]
	v_pk_mov_b32 v[4:5], v[8:9], v[8:9] op_sel:[0,1]
	s_cbranch_vccnz .LBB27_9
; %bb.8:
	v_mul_lo_u32 v1, v9, s2
	v_mul_lo_u32 v13, v8, s3
	v_mad_u64_u32 v[4:5], s[20:21], v8, s2, 0
	v_add3_u32 v5, v5, v13, v1
.LBB27_9:
	s_cbranch_execz .LBB27_11
	s_branch .LBB27_14
.LBB27_10:
                                        ; implicit-def: $vgpr4_vgpr5
.LBB27_11:
	s_andn2_b64 vcc, exec, s[6:7]
	s_cbranch_vccnz .LBB27_13
; %bb.12:
	v_mul_lo_u32 v1, v9, s2
	v_mul_lo_u32 v4, v8, s3
	v_mad_u64_u32 v[8:9], s[6:7], v8, s2, 0
	v_add3_u32 v9, v9, v4, v1
.LBB27_13:
	v_pk_mov_b32 v[4:5], v[8:9], v[8:9] op_sel:[0,1]
.LBB27_14:
	s_cmp_eq_u32 s15, 1
	s_cselect_b64 s[20:21], -1, 0
	s_cmpk_eq_i32 s13, 0x6f
	v_mov_b32_e32 v1, s17
	s_cselect_b64 s[22:23], -1, 0
	s_cmpk_lg_i32 s13, 0x6f
	s_waitcnt vmcnt(0)
	v_subrev_co_u32_e32 v8, vcc, s16, v6
	s_cselect_b64 s[6:7], -1, 0
	s_cmp_lg_u32 s15, 1
	v_subb_co_u32_e32 v9, vcc, v7, v1, vcc
	s_cbranch_scc0 .LBB27_18
; %bb.15:
	s_andn2_b64 vcc, exec, s[6:7]
	v_pk_mov_b32 v[6:7], v[8:9], v[8:9] op_sel:[0,1]
	s_cbranch_vccnz .LBB27_17
; %bb.16:
	v_mul_lo_u32 v1, v9, s8
	v_mul_lo_u32 v13, v8, s9
	v_mad_u64_u32 v[6:7], s[6:7], v8, s8, 0
	v_add3_u32 v7, v7, v13, v1
.LBB27_17:
	s_cbranch_execz .LBB27_19
	s_branch .LBB27_22
.LBB27_18:
                                        ; implicit-def: $vgpr6_vgpr7
.LBB27_19:
	s_andn2_b64 vcc, exec, s[22:23]
	s_cbranch_vccnz .LBB27_21
; %bb.20:
	v_mul_lo_u32 v1, v9, s8
	v_mul_lo_u32 v6, v8, s9
	v_mad_u64_u32 v[8:9], s[6:7], v8, s8, 0
	v_add3_u32 v9, v9, v6, v1
.LBB27_21:
	v_pk_mov_b32 v[6:7], v[8:9], v[8:9] op_sel:[0,1]
.LBB27_22:
	s_load_dwordx2 s[6:7], s[4:5], 0x60
	v_and_b32_e32 v0, 3, v0
	v_mov_b32_e32 v1, 0
	v_cmp_gt_i64_e32 vcc, s[0:1], v[0:1]
	s_and_saveexec_b64 s[12:13], vcc
	s_cbranch_execz .LBB27_26
; %bb.23:
	s_load_dwordx2 s[14:15], s[4:5], 0x38
	s_load_dwordx2 s[16:17], s[4:5], 0x48
	s_xor_b64 s[4:5], s[18:19], s[10:11]
	s_and_b64 s[4:5], s[4:5], exec
	s_cselect_b32 s5, 0, s3
	s_cselect_b32 s4, 1, s2
	s_xor_b64 s[2:3], s[22:23], s[20:21]
	s_and_b64 s[2:3], s[2:3], exec
	s_cselect_b32 s2, s8, 1
	s_cselect_b32 s3, s9, 0
	v_mad_u64_u32 v[8:9], s[8:9], s2, v0, 0
	v_mov_b32_e32 v14, v9
	v_mad_u64_u32 v[14:15], s[8:9], s3, v0, v[14:15]
	v_mov_b32_e32 v9, v14
	v_lshlrev_b64 v[8:9], 1, v[8:9]
	v_lshlrev_b64 v[6:7], 1, v[6:7]
	v_add_co_u32_e32 v6, vcc, v8, v6
	v_addc_co_u32_e32 v7, vcc, v9, v7, vcc
	s_waitcnt lgkmcnt(0)
	v_mov_b32_e32 v8, s17
	v_add_co_u32_e32 v6, vcc, s16, v6
	v_addc_co_u32_e32 v7, vcc, v8, v7, vcc
	v_mad_u64_u32 v[8:9], s[8:9], s4, v0, 0
	v_mov_b32_e32 v14, v9
	v_mad_u64_u32 v[14:15], s[8:9], s5, v0, v[14:15]
	v_mov_b32_e32 v9, v14
	v_lshlrev_b64 v[8:9], 1, v[8:9]
	v_lshlrev_b64 v[4:5], 1, v[4:5]
	v_add_co_u32_e32 v4, vcc, v8, v4
	v_addc_co_u32_e32 v5, vcc, v9, v5, vcc
	s_lshl_b64 s[2:3], s[2:3], 3
	v_mov_b32_e32 v8, s15
	v_add_co_u32_e32 v4, vcc, s14, v4
	s_lshl_b64 s[8:9], s[4:5], 3
	v_mov_b32_e32 v15, 0
	v_addc_co_u32_e32 v5, vcc, v8, v5, vcc
	s_mov_b64 s[4:5], 0
	v_mov_b32_e32 v13, s3
	v_mov_b32_e32 v14, s9
	v_pk_mov_b32 v[8:9], v[0:1], v[0:1] op_sel:[0,1]
	v_mov_b32_e32 v1, v15
.LBB27_24:                              ; =>This Inner Loop Header: Depth=1
	global_load_ushort v15, v[4:5], off
	global_load_ushort v16, v[6:7], off
	v_add_co_u32_e32 v8, vcc, 4, v8
	v_addc_co_u32_e32 v9, vcc, 0, v9, vcc
	v_add_co_u32_e32 v6, vcc, s2, v6
	v_addc_co_u32_e32 v7, vcc, v7, v13, vcc
	;; [unrolled: 2-line block ×3, first 2 shown]
	v_cmp_le_i64_e32 vcc, s[0:1], v[8:9]
	s_or_b64 s[4:5], vcc, s[4:5]
	s_waitcnt vmcnt(0)
	v_fma_f16 v1, v15, v16, v1
	s_andn2_b64 exec, exec, s[4:5]
	s_cbranch_execnz .LBB27_24
; %bb.25:
	s_or_b64 exec, exec, s[4:5]
.LBB27_26:
	s_or_b64 exec, exec, s[12:13]
	v_lshlrev_b32_e32 v4, 1, v0
	v_lshl_or_b32 v4, v12, 3, v4
	v_cmp_gt_u32_e32 vcc, 2, v0
	ds_write_b16 v4, v1
	s_waitcnt lgkmcnt(0)
	s_barrier
	s_and_saveexec_b64 s[0:1], vcc
	s_cbranch_execz .LBB27_28
; %bb.27:
	ds_read_u16 v1, v4
	ds_read_u16 v5, v4 offset:4
	s_waitcnt lgkmcnt(0)
	v_add_f16_e32 v1, v5, v1
	ds_write_b16 v4, v1
.LBB27_28:
	s_or_b64 exec, exec, s[0:1]
	v_cmp_eq_u32_e32 vcc, 0, v0
	v_lshlrev_b32_e32 v0, 3, v12
	s_waitcnt lgkmcnt(0)
	s_barrier
	s_and_saveexec_b64 s[0:1], vcc
	s_cbranch_execz .LBB27_30
; %bb.29:
	ds_read_u16 v1, v0 offset:2
	ds_read_u16 v5, v4
	s_waitcnt lgkmcnt(0)
	v_add_f16_e32 v1, v1, v5
	ds_write_b16 v4, v1
.LBB27_30:
	s_or_b64 exec, exec, s[0:1]
	s_waitcnt lgkmcnt(0)
	s_barrier
	s_and_b64 exec, exec, vcc
	s_cbranch_execz .LBB27_32
; %bb.31:
	v_lshlrev_b64 v[2:3], 1, v[2:3]
	v_mov_b32_e32 v1, s7
	v_add_co_u32_e32 v2, vcc, s6, v2
	v_addc_co_u32_e32 v3, vcc, v1, v3, vcc
	global_load_ushort v1, v[2:3], off
	ds_read_u16 v0, v0
	s_waitcnt lgkmcnt(0)
	v_mul_f16_e32 v0, v10, v0
	s_waitcnt vmcnt(0)
	v_fma_f16 v0, v11, v1, v0
	global_store_short v[2:3], v0, off
.LBB27_32:
	s_endpgm
	.section	.rodata,"a",@progbits
	.p2align	6, 0x0
	.amdhsa_kernel _ZN9rocsparseL17sddmm_coox_kernelILi512ELi4ELb0EDF16_llDF16_DF16_DF16_EEv20rocsparse_operation_S1_16rocsparse_order_S2_T4_S3_S3_T3_NS_24const_host_device_scalarIT2_EEPKT5_lPKT6_lS7_PT7_PKS4_SH_21rocsparse_index_base_b
		.amdhsa_group_segment_fixed_size 1024
		.amdhsa_private_segment_fixed_size 0
		.amdhsa_kernarg_size 128
		.amdhsa_user_sgpr_count 6
		.amdhsa_user_sgpr_private_segment_buffer 1
		.amdhsa_user_sgpr_dispatch_ptr 0
		.amdhsa_user_sgpr_queue_ptr 0
		.amdhsa_user_sgpr_kernarg_segment_ptr 1
		.amdhsa_user_sgpr_dispatch_id 0
		.amdhsa_user_sgpr_flat_scratch_init 0
		.amdhsa_user_sgpr_kernarg_preload_length 0
		.amdhsa_user_sgpr_kernarg_preload_offset 0
		.amdhsa_user_sgpr_private_segment_size 0
		.amdhsa_uses_dynamic_stack 0
		.amdhsa_system_sgpr_private_segment_wavefront_offset 0
		.amdhsa_system_sgpr_workgroup_id_x 1
		.amdhsa_system_sgpr_workgroup_id_y 0
		.amdhsa_system_sgpr_workgroup_id_z 0
		.amdhsa_system_sgpr_workgroup_info 0
		.amdhsa_system_vgpr_workitem_id 0
		.amdhsa_next_free_vgpr 17
		.amdhsa_next_free_sgpr 24
		.amdhsa_accum_offset 20
		.amdhsa_reserve_vcc 1
		.amdhsa_reserve_flat_scratch 0
		.amdhsa_float_round_mode_32 0
		.amdhsa_float_round_mode_16_64 0
		.amdhsa_float_denorm_mode_32 3
		.amdhsa_float_denorm_mode_16_64 3
		.amdhsa_dx10_clamp 1
		.amdhsa_ieee_mode 1
		.amdhsa_fp16_overflow 0
		.amdhsa_tg_split 0
		.amdhsa_exception_fp_ieee_invalid_op 0
		.amdhsa_exception_fp_denorm_src 0
		.amdhsa_exception_fp_ieee_div_zero 0
		.amdhsa_exception_fp_ieee_overflow 0
		.amdhsa_exception_fp_ieee_underflow 0
		.amdhsa_exception_fp_ieee_inexact 0
		.amdhsa_exception_int_div_zero 0
	.end_amdhsa_kernel
	.section	.text._ZN9rocsparseL17sddmm_coox_kernelILi512ELi4ELb0EDF16_llDF16_DF16_DF16_EEv20rocsparse_operation_S1_16rocsparse_order_S2_T4_S3_S3_T3_NS_24const_host_device_scalarIT2_EEPKT5_lPKT6_lS7_PT7_PKS4_SH_21rocsparse_index_base_b,"axG",@progbits,_ZN9rocsparseL17sddmm_coox_kernelILi512ELi4ELb0EDF16_llDF16_DF16_DF16_EEv20rocsparse_operation_S1_16rocsparse_order_S2_T4_S3_S3_T3_NS_24const_host_device_scalarIT2_EEPKT5_lPKT6_lS7_PT7_PKS4_SH_21rocsparse_index_base_b,comdat
.Lfunc_end27:
	.size	_ZN9rocsparseL17sddmm_coox_kernelILi512ELi4ELb0EDF16_llDF16_DF16_DF16_EEv20rocsparse_operation_S1_16rocsparse_order_S2_T4_S3_S3_T3_NS_24const_host_device_scalarIT2_EEPKT5_lPKT6_lS7_PT7_PKS4_SH_21rocsparse_index_base_b, .Lfunc_end27-_ZN9rocsparseL17sddmm_coox_kernelILi512ELi4ELb0EDF16_llDF16_DF16_DF16_EEv20rocsparse_operation_S1_16rocsparse_order_S2_T4_S3_S3_T3_NS_24const_host_device_scalarIT2_EEPKT5_lPKT6_lS7_PT7_PKS4_SH_21rocsparse_index_base_b
                                        ; -- End function
	.section	.AMDGPU.csdata,"",@progbits
; Kernel info:
; codeLenInByte = 1072
; NumSgprs: 28
; NumVgprs: 17
; NumAgprs: 0
; TotalNumVgprs: 17
; ScratchSize: 0
; MemoryBound: 0
; FloatMode: 240
; IeeeMode: 1
; LDSByteSize: 1024 bytes/workgroup (compile time only)
; SGPRBlocks: 3
; VGPRBlocks: 2
; NumSGPRsForWavesPerEU: 28
; NumVGPRsForWavesPerEU: 17
; AccumOffset: 20
; Occupancy: 8
; WaveLimiterHint : 0
; COMPUTE_PGM_RSRC2:SCRATCH_EN: 0
; COMPUTE_PGM_RSRC2:USER_SGPR: 6
; COMPUTE_PGM_RSRC2:TRAP_HANDLER: 0
; COMPUTE_PGM_RSRC2:TGID_X_EN: 1
; COMPUTE_PGM_RSRC2:TGID_Y_EN: 0
; COMPUTE_PGM_RSRC2:TGID_Z_EN: 0
; COMPUTE_PGM_RSRC2:TIDIG_COMP_CNT: 0
; COMPUTE_PGM_RSRC3_GFX90A:ACCUM_OFFSET: 4
; COMPUTE_PGM_RSRC3_GFX90A:TG_SPLIT: 0
	.section	.text._ZN9rocsparseL17sddmm_coox_kernelILi512ELi2ELb0EDF16_llDF16_DF16_DF16_EEv20rocsparse_operation_S1_16rocsparse_order_S2_T4_S3_S3_T3_NS_24const_host_device_scalarIT2_EEPKT5_lPKT6_lS7_PT7_PKS4_SH_21rocsparse_index_base_b,"axG",@progbits,_ZN9rocsparseL17sddmm_coox_kernelILi512ELi2ELb0EDF16_llDF16_DF16_DF16_EEv20rocsparse_operation_S1_16rocsparse_order_S2_T4_S3_S3_T3_NS_24const_host_device_scalarIT2_EEPKT5_lPKT6_lS7_PT7_PKS4_SH_21rocsparse_index_base_b,comdat
	.globl	_ZN9rocsparseL17sddmm_coox_kernelILi512ELi2ELb0EDF16_llDF16_DF16_DF16_EEv20rocsparse_operation_S1_16rocsparse_order_S2_T4_S3_S3_T3_NS_24const_host_device_scalarIT2_EEPKT5_lPKT6_lS7_PT7_PKS4_SH_21rocsparse_index_base_b ; -- Begin function _ZN9rocsparseL17sddmm_coox_kernelILi512ELi2ELb0EDF16_llDF16_DF16_DF16_EEv20rocsparse_operation_S1_16rocsparse_order_S2_T4_S3_S3_T3_NS_24const_host_device_scalarIT2_EEPKT5_lPKT6_lS7_PT7_PKS4_SH_21rocsparse_index_base_b
	.p2align	8
	.type	_ZN9rocsparseL17sddmm_coox_kernelILi512ELi2ELb0EDF16_llDF16_DF16_DF16_EEv20rocsparse_operation_S1_16rocsparse_order_S2_T4_S3_S3_T3_NS_24const_host_device_scalarIT2_EEPKT5_lPKT6_lS7_PT7_PKS4_SH_21rocsparse_index_base_b,@function
_ZN9rocsparseL17sddmm_coox_kernelILi512ELi2ELb0EDF16_llDF16_DF16_DF16_EEv20rocsparse_operation_S1_16rocsparse_order_S2_T4_S3_S3_T3_NS_24const_host_device_scalarIT2_EEPKT5_lPKT6_lS7_PT7_PKS4_SH_21rocsparse_index_base_b: ; @_ZN9rocsparseL17sddmm_coox_kernelILi512ELi2ELb0EDF16_llDF16_DF16_DF16_EEv20rocsparse_operation_S1_16rocsparse_order_S2_T4_S3_S3_T3_NS_24const_host_device_scalarIT2_EEPKT5_lPKT6_lS7_PT7_PKS4_SH_21rocsparse_index_base_b
; %bb.0:
	s_load_dwordx2 s[16:17], s[4:5], 0x78
	s_load_dwordx2 s[2:3], s[4:5], 0x30
	s_load_dwordx4 s[8:11], s[4:5], 0x50
	s_waitcnt lgkmcnt(0)
	s_bitcmp1_b32 s17, 0
	s_cselect_b64 s[12:13], -1, 0
	s_xor_b64 s[0:1], s[12:13], -1
	s_and_b64 vcc, exec, s[12:13]
	v_mov_b32_e32 v10, s2
	s_cbranch_vccnz .LBB28_2
; %bb.1:
	v_mov_b32_e32 v1, 0
	global_load_ushort v10, v1, s[2:3]
.LBB28_2:
	s_andn2_b64 vcc, exec, s[0:1]
	v_mov_b32_e32 v11, s10
	s_cbranch_vccnz .LBB28_4
; %bb.3:
	v_mov_b32_e32 v1, 0
	global_load_ushort v11, v1, s[10:11]
.LBB28_4:
	s_waitcnt vmcnt(0)
	v_cmp_eq_f16_e32 vcc, 0, v10
	v_cmp_eq_f16_e64 s[0:1], 1.0, v11
	s_and_b64 s[0:1], vcc, s[0:1]
	s_and_b64 vcc, exec, s[0:1]
	s_cbranch_vccnz .LBB28_30
; %bb.5:
	s_load_dwordx4 s[0:3], s[4:5], 0x20
	v_lshrrev_b32_e32 v12, 1, v0
	v_lshl_or_b32 v2, s6, 8, v12
	v_mov_b32_e32 v3, 0
	s_waitcnt lgkmcnt(0)
	v_cmp_gt_i64_e32 vcc, s[2:3], v[2:3]
	s_and_saveexec_b64 s[2:3], vcc
	s_cbranch_execz .LBB28_30
; %bb.6:
	s_load_dwordx4 s[12:15], s[4:5], 0x68
	v_lshlrev_b64 v[4:5], 3, v[2:3]
	s_mov_b32 s17, 0
	s_waitcnt lgkmcnt(0)
	v_mov_b32_e32 v1, s13
	v_add_co_u32_e32 v6, vcc, s12, v4
	v_addc_co_u32_e32 v7, vcc, v1, v5, vcc
	global_load_dwordx2 v[8:9], v[6:7], off
	v_mov_b32_e32 v1, s15
	v_add_co_u32_e32 v4, vcc, s14, v4
	v_addc_co_u32_e32 v5, vcc, v1, v5, vcc
	global_load_dwordx2 v[6:7], v[4:5], off
	s_load_dwordx4 s[12:15], s[4:5], 0x0
	s_load_dwordx2 s[2:3], s[4:5], 0x40
	s_waitcnt lgkmcnt(0)
	s_cmp_eq_u32 s14, 1
	s_cselect_b64 s[6:7], -1, 0
	s_cmpk_eq_i32 s12, 0x6f
	s_cselect_b64 s[10:11], -1, 0
	s_cmpk_lg_i32 s12, 0x6f
	s_cselect_b64 s[18:19], -1, 0
	s_cmp_lg_u32 s14, 1
	s_waitcnt vmcnt(1)
	v_subrev_co_u32_e32 v8, vcc, s16, v8
	v_subbrev_co_u32_e32 v9, vcc, 0, v9, vcc
	s_cbranch_scc0 .LBB28_10
; %bb.7:
	s_andn2_b64 vcc, exec, s[10:11]
	v_pk_mov_b32 v[4:5], v[8:9], v[8:9] op_sel:[0,1]
	s_cbranch_vccnz .LBB28_9
; %bb.8:
	v_mul_lo_u32 v1, v9, s2
	v_mul_lo_u32 v13, v8, s3
	v_mad_u64_u32 v[4:5], s[20:21], v8, s2, 0
	v_add3_u32 v5, v5, v13, v1
.LBB28_9:
	s_cbranch_execz .LBB28_11
	s_branch .LBB28_14
.LBB28_10:
                                        ; implicit-def: $vgpr4_vgpr5
.LBB28_11:
	s_andn2_b64 vcc, exec, s[18:19]
	s_cbranch_vccnz .LBB28_13
; %bb.12:
	v_mul_lo_u32 v1, v9, s2
	v_mul_lo_u32 v4, v8, s3
	v_mad_u64_u32 v[8:9], s[18:19], v8, s2, 0
	v_add3_u32 v9, v9, v4, v1
.LBB28_13:
	v_pk_mov_b32 v[4:5], v[8:9], v[8:9] op_sel:[0,1]
.LBB28_14:
	s_cmp_eq_u32 s15, 1
	s_cselect_b64 s[18:19], -1, 0
	s_cmpk_eq_i32 s13, 0x6f
	v_mov_b32_e32 v1, s17
	s_cselect_b64 s[20:21], -1, 0
	s_cmpk_lg_i32 s13, 0x6f
	s_waitcnt vmcnt(0)
	v_subrev_co_u32_e32 v8, vcc, s16, v6
	s_cselect_b64 s[12:13], -1, 0
	s_cmp_lg_u32 s15, 1
	v_subb_co_u32_e32 v9, vcc, v7, v1, vcc
	s_cbranch_scc0 .LBB28_18
; %bb.15:
	s_andn2_b64 vcc, exec, s[12:13]
	v_pk_mov_b32 v[6:7], v[8:9], v[8:9] op_sel:[0,1]
	s_cbranch_vccnz .LBB28_17
; %bb.16:
	v_mul_lo_u32 v1, v9, s8
	v_mul_lo_u32 v13, v8, s9
	v_mad_u64_u32 v[6:7], s[12:13], v8, s8, 0
	v_add3_u32 v7, v7, v13, v1
.LBB28_17:
	s_cbranch_execz .LBB28_19
	s_branch .LBB28_22
.LBB28_18:
                                        ; implicit-def: $vgpr6_vgpr7
.LBB28_19:
	s_andn2_b64 vcc, exec, s[20:21]
	s_cbranch_vccnz .LBB28_21
; %bb.20:
	v_mul_lo_u32 v1, v9, s8
	v_mul_lo_u32 v6, v8, s9
	v_mad_u64_u32 v[8:9], s[12:13], v8, s8, 0
	v_add3_u32 v9, v9, v6, v1
.LBB28_21:
	v_pk_mov_b32 v[6:7], v[8:9], v[8:9] op_sel:[0,1]
.LBB28_22:
	s_load_dwordx2 s[12:13], s[4:5], 0x60
	v_and_b32_e32 v0, 1, v0
	v_mov_b32_e32 v1, 0
	v_cmp_gt_i64_e32 vcc, s[0:1], v[0:1]
	s_and_saveexec_b64 s[14:15], vcc
	s_cbranch_execz .LBB28_26
; %bb.23:
	s_load_dwordx2 s[16:17], s[4:5], 0x38
	s_load_dwordx2 s[22:23], s[4:5], 0x48
	s_xor_b64 s[4:5], s[10:11], s[6:7]
	s_and_b64 s[4:5], s[4:5], exec
	s_cselect_b32 s5, 0, s3
	s_cselect_b32 s4, 1, s2
	s_xor_b64 s[2:3], s[20:21], s[18:19]
	s_and_b64 s[2:3], s[2:3], exec
	s_cselect_b32 s3, s9, 0
	s_cselect_b32 s2, s8, 1
	v_mul_lo_u32 v9, s3, v0
	v_mul_lo_u32 v8, s2, v0
	v_lshlrev_b64 v[8:9], 1, v[8:9]
	v_lshlrev_b64 v[6:7], 1, v[6:7]
	v_add_co_u32_e32 v6, vcc, v8, v6
	v_addc_co_u32_e32 v7, vcc, v9, v7, vcc
	s_waitcnt lgkmcnt(0)
	v_mov_b32_e32 v8, s23
	v_add_co_u32_e32 v6, vcc, s22, v6
	v_addc_co_u32_e32 v7, vcc, v8, v7, vcc
	v_mul_lo_u32 v9, s5, v0
	v_mul_lo_u32 v8, s4, v0
	v_lshlrev_b64 v[8:9], 1, v[8:9]
	v_lshlrev_b64 v[4:5], 1, v[4:5]
	v_add_co_u32_e32 v4, vcc, v8, v4
	v_addc_co_u32_e32 v5, vcc, v9, v5, vcc
	s_lshl_b64 s[2:3], s[2:3], 2
	v_mov_b32_e32 v8, s17
	v_add_co_u32_e32 v4, vcc, s16, v4
	s_lshl_b64 s[6:7], s[4:5], 2
	v_mov_b32_e32 v15, 0
	v_addc_co_u32_e32 v5, vcc, v8, v5, vcc
	s_mov_b64 s[4:5], 0
	v_mov_b32_e32 v13, s3
	v_mov_b32_e32 v14, s7
	v_pk_mov_b32 v[8:9], v[0:1], v[0:1] op_sel:[0,1]
	v_mov_b32_e32 v1, v15
.LBB28_24:                              ; =>This Inner Loop Header: Depth=1
	global_load_ushort v15, v[4:5], off
	global_load_ushort v16, v[6:7], off
	v_add_co_u32_e32 v8, vcc, 2, v8
	v_addc_co_u32_e32 v9, vcc, 0, v9, vcc
	v_add_co_u32_e32 v6, vcc, s2, v6
	v_addc_co_u32_e32 v7, vcc, v7, v13, vcc
	;; [unrolled: 2-line block ×3, first 2 shown]
	v_cmp_le_i64_e32 vcc, s[0:1], v[8:9]
	s_or_b64 s[4:5], vcc, s[4:5]
	s_waitcnt vmcnt(0)
	v_fma_f16 v1, v15, v16, v1
	s_andn2_b64 exec, exec, s[4:5]
	s_cbranch_execnz .LBB28_24
; %bb.25:
	s_or_b64 exec, exec, s[4:5]
.LBB28_26:
	s_or_b64 exec, exec, s[14:15]
	v_lshlrev_b32_e32 v4, 2, v12
	v_lshl_or_b32 v5, v0, 1, v4
	v_cmp_eq_u32_e32 vcc, 0, v0
	ds_write_b16 v5, v1
	s_waitcnt lgkmcnt(0)
	s_barrier
	s_and_saveexec_b64 s[0:1], vcc
	s_cbranch_execz .LBB28_28
; %bb.27:
	ds_read_u16 v0, v4 offset:2
	ds_read_u16 v1, v5
	s_waitcnt lgkmcnt(0)
	v_add_f16_e32 v0, v0, v1
	ds_write_b16 v5, v0
.LBB28_28:
	s_or_b64 exec, exec, s[0:1]
	s_waitcnt lgkmcnt(0)
	s_barrier
	s_and_b64 exec, exec, vcc
	s_cbranch_execz .LBB28_30
; %bb.29:
	v_lshlrev_b64 v[0:1], 1, v[2:3]
	v_mov_b32_e32 v2, s13
	v_add_co_u32_e32 v0, vcc, s12, v0
	v_addc_co_u32_e32 v1, vcc, v2, v1, vcc
	global_load_ushort v2, v[0:1], off
	ds_read_u16 v3, v4
	s_waitcnt lgkmcnt(0)
	v_mul_f16_e32 v3, v10, v3
	s_waitcnt vmcnt(0)
	v_fma_f16 v2, v11, v2, v3
	global_store_short v[0:1], v2, off
.LBB28_30:
	s_endpgm
	.section	.rodata,"a",@progbits
	.p2align	6, 0x0
	.amdhsa_kernel _ZN9rocsparseL17sddmm_coox_kernelILi512ELi2ELb0EDF16_llDF16_DF16_DF16_EEv20rocsparse_operation_S1_16rocsparse_order_S2_T4_S3_S3_T3_NS_24const_host_device_scalarIT2_EEPKT5_lPKT6_lS7_PT7_PKS4_SH_21rocsparse_index_base_b
		.amdhsa_group_segment_fixed_size 1024
		.amdhsa_private_segment_fixed_size 0
		.amdhsa_kernarg_size 128
		.amdhsa_user_sgpr_count 6
		.amdhsa_user_sgpr_private_segment_buffer 1
		.amdhsa_user_sgpr_dispatch_ptr 0
		.amdhsa_user_sgpr_queue_ptr 0
		.amdhsa_user_sgpr_kernarg_segment_ptr 1
		.amdhsa_user_sgpr_dispatch_id 0
		.amdhsa_user_sgpr_flat_scratch_init 0
		.amdhsa_user_sgpr_kernarg_preload_length 0
		.amdhsa_user_sgpr_kernarg_preload_offset 0
		.amdhsa_user_sgpr_private_segment_size 0
		.amdhsa_uses_dynamic_stack 0
		.amdhsa_system_sgpr_private_segment_wavefront_offset 0
		.amdhsa_system_sgpr_workgroup_id_x 1
		.amdhsa_system_sgpr_workgroup_id_y 0
		.amdhsa_system_sgpr_workgroup_id_z 0
		.amdhsa_system_sgpr_workgroup_info 0
		.amdhsa_system_vgpr_workitem_id 0
		.amdhsa_next_free_vgpr 17
		.amdhsa_next_free_sgpr 24
		.amdhsa_accum_offset 20
		.amdhsa_reserve_vcc 1
		.amdhsa_reserve_flat_scratch 0
		.amdhsa_float_round_mode_32 0
		.amdhsa_float_round_mode_16_64 0
		.amdhsa_float_denorm_mode_32 3
		.amdhsa_float_denorm_mode_16_64 3
		.amdhsa_dx10_clamp 1
		.amdhsa_ieee_mode 1
		.amdhsa_fp16_overflow 0
		.amdhsa_tg_split 0
		.amdhsa_exception_fp_ieee_invalid_op 0
		.amdhsa_exception_fp_denorm_src 0
		.amdhsa_exception_fp_ieee_div_zero 0
		.amdhsa_exception_fp_ieee_overflow 0
		.amdhsa_exception_fp_ieee_underflow 0
		.amdhsa_exception_fp_ieee_inexact 0
		.amdhsa_exception_int_div_zero 0
	.end_amdhsa_kernel
	.section	.text._ZN9rocsparseL17sddmm_coox_kernelILi512ELi2ELb0EDF16_llDF16_DF16_DF16_EEv20rocsparse_operation_S1_16rocsparse_order_S2_T4_S3_S3_T3_NS_24const_host_device_scalarIT2_EEPKT5_lPKT6_lS7_PT7_PKS4_SH_21rocsparse_index_base_b,"axG",@progbits,_ZN9rocsparseL17sddmm_coox_kernelILi512ELi2ELb0EDF16_llDF16_DF16_DF16_EEv20rocsparse_operation_S1_16rocsparse_order_S2_T4_S3_S3_T3_NS_24const_host_device_scalarIT2_EEPKT5_lPKT6_lS7_PT7_PKS4_SH_21rocsparse_index_base_b,comdat
.Lfunc_end28:
	.size	_ZN9rocsparseL17sddmm_coox_kernelILi512ELi2ELb0EDF16_llDF16_DF16_DF16_EEv20rocsparse_operation_S1_16rocsparse_order_S2_T4_S3_S3_T3_NS_24const_host_device_scalarIT2_EEPKT5_lPKT6_lS7_PT7_PKS4_SH_21rocsparse_index_base_b, .Lfunc_end28-_ZN9rocsparseL17sddmm_coox_kernelILi512ELi2ELb0EDF16_llDF16_DF16_DF16_EEv20rocsparse_operation_S1_16rocsparse_order_S2_T4_S3_S3_T3_NS_24const_host_device_scalarIT2_EEPKT5_lPKT6_lS7_PT7_PKS4_SH_21rocsparse_index_base_b
                                        ; -- End function
	.section	.AMDGPU.csdata,"",@progbits
; Kernel info:
; codeLenInByte = 996
; NumSgprs: 28
; NumVgprs: 17
; NumAgprs: 0
; TotalNumVgprs: 17
; ScratchSize: 0
; MemoryBound: 0
; FloatMode: 240
; IeeeMode: 1
; LDSByteSize: 1024 bytes/workgroup (compile time only)
; SGPRBlocks: 3
; VGPRBlocks: 2
; NumSGPRsForWavesPerEU: 28
; NumVGPRsForWavesPerEU: 17
; AccumOffset: 20
; Occupancy: 8
; WaveLimiterHint : 0
; COMPUTE_PGM_RSRC2:SCRATCH_EN: 0
; COMPUTE_PGM_RSRC2:USER_SGPR: 6
; COMPUTE_PGM_RSRC2:TRAP_HANDLER: 0
; COMPUTE_PGM_RSRC2:TGID_X_EN: 1
; COMPUTE_PGM_RSRC2:TGID_Y_EN: 0
; COMPUTE_PGM_RSRC2:TGID_Z_EN: 0
; COMPUTE_PGM_RSRC2:TIDIG_COMP_CNT: 0
; COMPUTE_PGM_RSRC3_GFX90A:ACCUM_OFFSET: 4
; COMPUTE_PGM_RSRC3_GFX90A:TG_SPLIT: 0
	.section	.text._ZN9rocsparseL17sddmm_coox_kernelILi512ELi1ELb0EDF16_llDF16_DF16_DF16_EEv20rocsparse_operation_S1_16rocsparse_order_S2_T4_S3_S3_T3_NS_24const_host_device_scalarIT2_EEPKT5_lPKT6_lS7_PT7_PKS4_SH_21rocsparse_index_base_b,"axG",@progbits,_ZN9rocsparseL17sddmm_coox_kernelILi512ELi1ELb0EDF16_llDF16_DF16_DF16_EEv20rocsparse_operation_S1_16rocsparse_order_S2_T4_S3_S3_T3_NS_24const_host_device_scalarIT2_EEPKT5_lPKT6_lS7_PT7_PKS4_SH_21rocsparse_index_base_b,comdat
	.globl	_ZN9rocsparseL17sddmm_coox_kernelILi512ELi1ELb0EDF16_llDF16_DF16_DF16_EEv20rocsparse_operation_S1_16rocsparse_order_S2_T4_S3_S3_T3_NS_24const_host_device_scalarIT2_EEPKT5_lPKT6_lS7_PT7_PKS4_SH_21rocsparse_index_base_b ; -- Begin function _ZN9rocsparseL17sddmm_coox_kernelILi512ELi1ELb0EDF16_llDF16_DF16_DF16_EEv20rocsparse_operation_S1_16rocsparse_order_S2_T4_S3_S3_T3_NS_24const_host_device_scalarIT2_EEPKT5_lPKT6_lS7_PT7_PKS4_SH_21rocsparse_index_base_b
	.p2align	8
	.type	_ZN9rocsparseL17sddmm_coox_kernelILi512ELi1ELb0EDF16_llDF16_DF16_DF16_EEv20rocsparse_operation_S1_16rocsparse_order_S2_T4_S3_S3_T3_NS_24const_host_device_scalarIT2_EEPKT5_lPKT6_lS7_PT7_PKS4_SH_21rocsparse_index_base_b,@function
_ZN9rocsparseL17sddmm_coox_kernelILi512ELi1ELb0EDF16_llDF16_DF16_DF16_EEv20rocsparse_operation_S1_16rocsparse_order_S2_T4_S3_S3_T3_NS_24const_host_device_scalarIT2_EEPKT5_lPKT6_lS7_PT7_PKS4_SH_21rocsparse_index_base_b: ; @_ZN9rocsparseL17sddmm_coox_kernelILi512ELi1ELb0EDF16_llDF16_DF16_DF16_EEv20rocsparse_operation_S1_16rocsparse_order_S2_T4_S3_S3_T3_NS_24const_host_device_scalarIT2_EEPKT5_lPKT6_lS7_PT7_PKS4_SH_21rocsparse_index_base_b
; %bb.0:
	s_load_dwordx2 s[16:17], s[4:5], 0x78
	s_load_dwordx2 s[2:3], s[4:5], 0x30
	s_load_dwordx4 s[8:11], s[4:5], 0x50
	s_waitcnt lgkmcnt(0)
	s_bitcmp1_b32 s17, 0
	s_cselect_b64 s[12:13], -1, 0
	s_xor_b64 s[0:1], s[12:13], -1
	s_and_b64 vcc, exec, s[12:13]
	v_mov_b32_e32 v1, s2
	s_cbranch_vccnz .LBB29_2
; %bb.1:
	v_mov_b32_e32 v1, 0
	global_load_ushort v1, v1, s[2:3]
.LBB29_2:
	s_andn2_b64 vcc, exec, s[0:1]
	v_mov_b32_e32 v10, s10
	s_cbranch_vccnz .LBB29_4
; %bb.3:
	v_mov_b32_e32 v2, 0
	global_load_ushort v10, v2, s[10:11]
.LBB29_4:
	s_waitcnt vmcnt(0)
	v_cmp_eq_f16_e32 vcc, 0, v1
	v_cmp_eq_f16_e64 s[0:1], 1.0, v10
	s_and_b64 s[0:1], vcc, s[0:1]
	s_and_b64 vcc, exec, s[0:1]
	s_cbranch_vccnz .LBB29_27
; %bb.5:
	s_load_dwordx4 s[0:3], s[4:5], 0x20
	v_lshl_or_b32 v2, s6, 9, v0
	v_mov_b32_e32 v3, 0
	s_waitcnt lgkmcnt(0)
	v_cmp_gt_i64_e32 vcc, s[2:3], v[2:3]
	s_and_saveexec_b64 s[2:3], vcc
	s_cbranch_execz .LBB29_27
; %bb.6:
	s_load_dwordx4 s[12:15], s[4:5], 0x68
	v_lshlrev_b64 v[4:5], 3, v[2:3]
	s_mov_b32 s17, 0
	s_waitcnt lgkmcnt(0)
	v_mov_b32_e32 v7, s13
	v_add_co_u32_e32 v6, vcc, s12, v4
	v_addc_co_u32_e32 v7, vcc, v7, v5, vcc
	global_load_dwordx2 v[8:9], v[6:7], off
	v_mov_b32_e32 v6, s15
	v_add_co_u32_e32 v4, vcc, s14, v4
	v_addc_co_u32_e32 v5, vcc, v6, v5, vcc
	global_load_dwordx2 v[6:7], v[4:5], off
	s_load_dwordx4 s[12:15], s[4:5], 0x0
	s_load_dwordx2 s[2:3], s[4:5], 0x40
	s_waitcnt lgkmcnt(0)
	s_cmp_eq_u32 s14, 1
	s_cselect_b64 s[6:7], -1, 0
	s_cmpk_eq_i32 s12, 0x6f
	s_cselect_b64 s[10:11], -1, 0
	s_cmpk_lg_i32 s12, 0x6f
	s_cselect_b64 s[18:19], -1, 0
	s_cmp_lg_u32 s14, 1
	s_waitcnt vmcnt(1)
	v_subrev_co_u32_e32 v8, vcc, s16, v8
	v_subbrev_co_u32_e32 v9, vcc, 0, v9, vcc
	s_cbranch_scc0 .LBB29_10
; %bb.7:
	s_andn2_b64 vcc, exec, s[10:11]
	v_pk_mov_b32 v[4:5], v[8:9], v[8:9] op_sel:[0,1]
	s_cbranch_vccnz .LBB29_9
; %bb.8:
	v_mul_lo_u32 v11, v9, s2
	v_mul_lo_u32 v12, v8, s3
	v_mad_u64_u32 v[4:5], s[20:21], v8, s2, 0
	v_add3_u32 v5, v5, v12, v11
.LBB29_9:
	s_cbranch_execz .LBB29_11
	s_branch .LBB29_14
.LBB29_10:
                                        ; implicit-def: $vgpr4_vgpr5
.LBB29_11:
	s_andn2_b64 vcc, exec, s[18:19]
	s_cbranch_vccnz .LBB29_13
; %bb.12:
	v_mul_lo_u32 v4, v9, s2
	v_mul_lo_u32 v5, v8, s3
	v_mad_u64_u32 v[8:9], s[18:19], v8, s2, 0
	v_add3_u32 v9, v9, v5, v4
.LBB29_13:
	v_pk_mov_b32 v[4:5], v[8:9], v[8:9] op_sel:[0,1]
.LBB29_14:
	s_cmp_eq_u32 s15, 1
	s_cselect_b64 s[18:19], -1, 0
	s_cmpk_eq_i32 s13, 0x6f
	v_mov_b32_e32 v8, s17
	s_cselect_b64 s[20:21], -1, 0
	s_cmpk_lg_i32 s13, 0x6f
	s_waitcnt vmcnt(0)
	v_subrev_co_u32_e32 v6, vcc, s16, v6
	s_cselect_b64 s[12:13], -1, 0
	s_cmp_lg_u32 s15, 1
	v_subb_co_u32_e32 v7, vcc, v7, v8, vcc
	s_cbranch_scc0 .LBB29_21
; %bb.15:
	s_andn2_b64 vcc, exec, s[12:13]
	v_pk_mov_b32 v[8:9], v[6:7], v[6:7] op_sel:[0,1]
	s_cbranch_vccnz .LBB29_17
; %bb.16:
	v_mul_lo_u32 v11, v7, s8
	v_mul_lo_u32 v12, v6, s9
	v_mad_u64_u32 v[8:9], s[12:13], v6, s8, 0
	v_add3_u32 v9, v9, v12, v11
.LBB29_17:
	s_cbranch_execz .LBB29_22
; %bb.18:
	s_load_dwordx2 s[12:13], s[4:5], 0x60
	v_cmp_lt_i64_e64 s[14:15], s[0:1], 1
	s_and_b64 vcc, exec, s[14:15]
	s_cbranch_vccnz .LBB29_25
.LBB29_19:
	s_load_dwordx2 s[14:15], s[4:5], 0x48
	s_load_dwordx2 s[16:17], s[4:5], 0x38
	s_xor_b64 s[4:5], s[10:11], s[6:7]
	s_and_b64 s[4:5], s[4:5], exec
	v_lshlrev_b64 v[6:7], 1, v[8:9]
	s_cselect_b32 s5, 0, s3
	s_cselect_b32 s4, 1, s2
	s_xor_b64 s[2:3], s[20:21], s[18:19]
	s_waitcnt lgkmcnt(0)
	v_mov_b32_e32 v8, s15
	v_add_co_u32_e32 v6, vcc, s14, v6
	s_and_b64 s[2:3], s[2:3], exec
	v_addc_co_u32_e32 v7, vcc, v8, v7, vcc
	v_lshlrev_b64 v[4:5], 1, v[4:5]
	s_cselect_b32 s3, s9, 0
	s_cselect_b32 s2, s8, 1
	v_mov_b32_e32 v8, s17
	v_add_co_u32_e32 v4, vcc, s16, v4
	s_lshl_b64 s[2:3], s[2:3], 1
	s_lshl_b64 s[4:5], s[4:5], 1
	v_addc_co_u32_e32 v5, vcc, v8, v5, vcc
	v_mov_b32_e32 v8, 0
	v_mov_b32_e32 v9, s3
	v_mov_b32_e32 v11, s5
.LBB29_20:                              ; =>This Inner Loop Header: Depth=1
	global_load_ushort v12, v[4:5], off
	global_load_ushort v13, v[6:7], off
	v_add_co_u32_e32 v6, vcc, s2, v6
	s_add_u32 s0, s0, -1
	v_addc_co_u32_e32 v7, vcc, v7, v9, vcc
	v_add_co_u32_e32 v4, vcc, s4, v4
	s_addc_u32 s1, s1, -1
	v_addc_co_u32_e32 v5, vcc, v5, v11, vcc
	s_cmp_eq_u64 s[0:1], 0
	s_waitcnt vmcnt(0)
	v_fma_f16 v8, v12, v13, v8
	s_cbranch_scc0 .LBB29_20
	s_branch .LBB29_26
.LBB29_21:
                                        ; implicit-def: $vgpr8_vgpr9
.LBB29_22:
	s_andn2_b64 vcc, exec, s[20:21]
	s_cbranch_vccnz .LBB29_24
; %bb.23:
	v_mul_lo_u32 v8, v7, s8
	v_mul_lo_u32 v9, v6, s9
	v_mad_u64_u32 v[6:7], s[12:13], v6, s8, 0
	v_add3_u32 v7, v7, v9, v8
.LBB29_24:
	v_pk_mov_b32 v[8:9], v[6:7], v[6:7] op_sel:[0,1]
	s_load_dwordx2 s[12:13], s[4:5], 0x60
	v_cmp_lt_i64_e64 s[14:15], s[0:1], 1
	s_and_b64 vcc, exec, s[14:15]
	s_cbranch_vccz .LBB29_19
.LBB29_25:
	v_mov_b32_e32 v8, 0
.LBB29_26:
	v_lshlrev_b64 v[2:3], 1, v[2:3]
	s_waitcnt lgkmcnt(0)
	v_mov_b32_e32 v4, s13
	v_add_co_u32_e32 v2, vcc, s12, v2
	v_lshlrev_b32_e32 v0, 1, v0
	v_addc_co_u32_e32 v3, vcc, v4, v3, vcc
	ds_write_b16 v0, v8
	s_waitcnt lgkmcnt(0)
	s_barrier
	global_load_ushort v4, v[2:3], off
	ds_read_u16 v0, v0
	s_waitcnt lgkmcnt(0)
	v_mul_f16_e32 v0, v1, v0
	s_waitcnt vmcnt(0)
	v_fma_f16 v0, v10, v4, v0
	global_store_short v[2:3], v0, off
.LBB29_27:
	s_endpgm
	.section	.rodata,"a",@progbits
	.p2align	6, 0x0
	.amdhsa_kernel _ZN9rocsparseL17sddmm_coox_kernelILi512ELi1ELb0EDF16_llDF16_DF16_DF16_EEv20rocsparse_operation_S1_16rocsparse_order_S2_T4_S3_S3_T3_NS_24const_host_device_scalarIT2_EEPKT5_lPKT6_lS7_PT7_PKS4_SH_21rocsparse_index_base_b
		.amdhsa_group_segment_fixed_size 1024
		.amdhsa_private_segment_fixed_size 0
		.amdhsa_kernarg_size 128
		.amdhsa_user_sgpr_count 6
		.amdhsa_user_sgpr_private_segment_buffer 1
		.amdhsa_user_sgpr_dispatch_ptr 0
		.amdhsa_user_sgpr_queue_ptr 0
		.amdhsa_user_sgpr_kernarg_segment_ptr 1
		.amdhsa_user_sgpr_dispatch_id 0
		.amdhsa_user_sgpr_flat_scratch_init 0
		.amdhsa_user_sgpr_kernarg_preload_length 0
		.amdhsa_user_sgpr_kernarg_preload_offset 0
		.amdhsa_user_sgpr_private_segment_size 0
		.amdhsa_uses_dynamic_stack 0
		.amdhsa_system_sgpr_private_segment_wavefront_offset 0
		.amdhsa_system_sgpr_workgroup_id_x 1
		.amdhsa_system_sgpr_workgroup_id_y 0
		.amdhsa_system_sgpr_workgroup_id_z 0
		.amdhsa_system_sgpr_workgroup_info 0
		.amdhsa_system_vgpr_workitem_id 0
		.amdhsa_next_free_vgpr 14
		.amdhsa_next_free_sgpr 22
		.amdhsa_accum_offset 16
		.amdhsa_reserve_vcc 1
		.amdhsa_reserve_flat_scratch 0
		.amdhsa_float_round_mode_32 0
		.amdhsa_float_round_mode_16_64 0
		.amdhsa_float_denorm_mode_32 3
		.amdhsa_float_denorm_mode_16_64 3
		.amdhsa_dx10_clamp 1
		.amdhsa_ieee_mode 1
		.amdhsa_fp16_overflow 0
		.amdhsa_tg_split 0
		.amdhsa_exception_fp_ieee_invalid_op 0
		.amdhsa_exception_fp_denorm_src 0
		.amdhsa_exception_fp_ieee_div_zero 0
		.amdhsa_exception_fp_ieee_overflow 0
		.amdhsa_exception_fp_ieee_underflow 0
		.amdhsa_exception_fp_ieee_inexact 0
		.amdhsa_exception_int_div_zero 0
	.end_amdhsa_kernel
	.section	.text._ZN9rocsparseL17sddmm_coox_kernelILi512ELi1ELb0EDF16_llDF16_DF16_DF16_EEv20rocsparse_operation_S1_16rocsparse_order_S2_T4_S3_S3_T3_NS_24const_host_device_scalarIT2_EEPKT5_lPKT6_lS7_PT7_PKS4_SH_21rocsparse_index_base_b,"axG",@progbits,_ZN9rocsparseL17sddmm_coox_kernelILi512ELi1ELb0EDF16_llDF16_DF16_DF16_EEv20rocsparse_operation_S1_16rocsparse_order_S2_T4_S3_S3_T3_NS_24const_host_device_scalarIT2_EEPKT5_lPKT6_lS7_PT7_PKS4_SH_21rocsparse_index_base_b,comdat
.Lfunc_end29:
	.size	_ZN9rocsparseL17sddmm_coox_kernelILi512ELi1ELb0EDF16_llDF16_DF16_DF16_EEv20rocsparse_operation_S1_16rocsparse_order_S2_T4_S3_S3_T3_NS_24const_host_device_scalarIT2_EEPKT5_lPKT6_lS7_PT7_PKS4_SH_21rocsparse_index_base_b, .Lfunc_end29-_ZN9rocsparseL17sddmm_coox_kernelILi512ELi1ELb0EDF16_llDF16_DF16_DF16_EEv20rocsparse_operation_S1_16rocsparse_order_S2_T4_S3_S3_T3_NS_24const_host_device_scalarIT2_EEPKT5_lPKT6_lS7_PT7_PKS4_SH_21rocsparse_index_base_b
                                        ; -- End function
	.section	.AMDGPU.csdata,"",@progbits
; Kernel info:
; codeLenInByte = 852
; NumSgprs: 26
; NumVgprs: 14
; NumAgprs: 0
; TotalNumVgprs: 14
; ScratchSize: 0
; MemoryBound: 0
; FloatMode: 240
; IeeeMode: 1
; LDSByteSize: 1024 bytes/workgroup (compile time only)
; SGPRBlocks: 3
; VGPRBlocks: 1
; NumSGPRsForWavesPerEU: 26
; NumVGPRsForWavesPerEU: 14
; AccumOffset: 16
; Occupancy: 8
; WaveLimiterHint : 0
; COMPUTE_PGM_RSRC2:SCRATCH_EN: 0
; COMPUTE_PGM_RSRC2:USER_SGPR: 6
; COMPUTE_PGM_RSRC2:TRAP_HANDLER: 0
; COMPUTE_PGM_RSRC2:TGID_X_EN: 1
; COMPUTE_PGM_RSRC2:TGID_Y_EN: 0
; COMPUTE_PGM_RSRC2:TGID_Z_EN: 0
; COMPUTE_PGM_RSRC2:TIDIG_COMP_CNT: 0
; COMPUTE_PGM_RSRC3_GFX90A:ACCUM_OFFSET: 3
; COMPUTE_PGM_RSRC3_GFX90A:TG_SPLIT: 0
	.section	.text._ZN9rocsparseL24sddmm_coox_sample_kernelILi512ELb0EfllfEEvT3_S1_T2_PKT4_S1_PS3_PKS2_S8_21rocsparse_index_base_,"axG",@progbits,_ZN9rocsparseL24sddmm_coox_sample_kernelILi512ELb0EfllfEEvT3_S1_T2_PKT4_S1_PS3_PKS2_S8_21rocsparse_index_base_,comdat
	.globl	_ZN9rocsparseL24sddmm_coox_sample_kernelILi512ELb0EfllfEEvT3_S1_T2_PKT4_S1_PS3_PKS2_S8_21rocsparse_index_base_ ; -- Begin function _ZN9rocsparseL24sddmm_coox_sample_kernelILi512ELb0EfllfEEvT3_S1_T2_PKT4_S1_PS3_PKS2_S8_21rocsparse_index_base_
	.p2align	8
	.type	_ZN9rocsparseL24sddmm_coox_sample_kernelILi512ELb0EfllfEEvT3_S1_T2_PKT4_S1_PS3_PKS2_S8_21rocsparse_index_base_,@function
_ZN9rocsparseL24sddmm_coox_sample_kernelILi512ELb0EfllfEEvT3_S1_T2_PKT4_S1_PS3_PKS2_S8_21rocsparse_index_base_: ; @_ZN9rocsparseL24sddmm_coox_sample_kernelILi512ELb0EfllfEEvT3_S1_T2_PKT4_S1_PS3_PKS2_S8_21rocsparse_index_base_
; %bb.0:
	s_load_dwordx2 s[2:3], s[4:5], 0x10
	v_lshl_or_b32 v0, s6, 9, v0
	v_mov_b32_e32 v1, 0
	s_waitcnt lgkmcnt(0)
	v_cmp_gt_i64_e32 vcc, s[2:3], v[0:1]
	s_and_saveexec_b64 s[0:1], vcc
	s_cbranch_execz .LBB30_3
; %bb.1:
	s_load_dword s0, s[4:5], 0x48
	s_load_dwordx2 s[6:7], s[4:5], 0x38
	s_load_dword s16, s[4:5], 0x40
	s_load_dwordx8 s[8:15], s[4:5], 0x18
	s_mov_b32 s1, 0
	s_waitcnt lgkmcnt(0)
	s_lshl_b32 s17, s0, 9
	v_pk_mov_b32 v[2:3], v[0:1], v[0:1] op_sel:[0,1]
	v_add_u32_e32 v0, s17, v0
	s_mov_b64 s[4:5], 0
	v_mov_b32_e32 v4, s15
	v_mov_b32_e32 v5, s1
	;; [unrolled: 1-line block ×5, first 2 shown]
.LBB30_2:                               ; =>This Inner Loop Header: Depth=1
	v_lshlrev_b64 v[10:11], 3, v[2:3]
	v_add_co_u32_e32 v12, vcc, s14, v10
	v_addc_co_u32_e32 v13, vcc, v4, v11, vcc
	v_add_co_u32_e32 v10, vcc, s6, v10
	v_addc_co_u32_e32 v11, vcc, v6, v11, vcc
	global_load_dwordx2 v[14:15], v[10:11], off
	global_load_dwordx2 v[16:17], v[12:13], off
	s_waitcnt vmcnt(0)
	v_subrev_co_u32_e32 v10, vcc, s16, v16
	v_subb_co_u32_e32 v11, vcc, v17, v5, vcc
	v_subrev_co_u32_e32 v9, vcc, s16, v14
	v_subb_co_u32_e32 v12, vcc, v15, v5, vcc
	v_mul_lo_u32 v14, v12, s10
	v_mul_lo_u32 v15, v9, s11
	v_mad_u64_u32 v[12:13], s[0:1], v9, s10, 0
	v_add3_u32 v13, v13, v15, v14
	v_lshlrev_b64 v[12:13], 2, v[12:13]
	v_add_co_u32_e32 v9, vcc, s8, v12
	v_lshlrev_b64 v[10:11], 2, v[10:11]
	v_addc_co_u32_e32 v12, vcc, v7, v13, vcc
	v_add_co_u32_e32 v10, vcc, v9, v10
	v_addc_co_u32_e32 v11, vcc, v12, v11, vcc
	global_load_dword v9, v[10:11], off
	v_lshlrev_b64 v[10:11], 2, v[2:3]
	v_cmp_le_u64_e32 vcc, s[2:3], v[0:1]
	v_add_co_u32_e64 v10, s[0:1], s12, v10
	v_pk_mov_b32 v[2:3], v[0:1], v[0:1] op_sel:[0,1]
	v_add_u32_e32 v0, s17, v0
	v_addc_co_u32_e64 v11, s[0:1], v8, v11, s[0:1]
	s_or_b64 s[4:5], vcc, s[4:5]
	s_waitcnt vmcnt(0)
	global_store_dword v[10:11], v9, off
	s_andn2_b64 exec, exec, s[4:5]
	s_cbranch_execnz .LBB30_2
.LBB30_3:
	s_endpgm
	.section	.rodata,"a",@progbits
	.p2align	6, 0x0
	.amdhsa_kernel _ZN9rocsparseL24sddmm_coox_sample_kernelILi512ELb0EfllfEEvT3_S1_T2_PKT4_S1_PS3_PKS2_S8_21rocsparse_index_base_
		.amdhsa_group_segment_fixed_size 0
		.amdhsa_private_segment_fixed_size 0
		.amdhsa_kernarg_size 328
		.amdhsa_user_sgpr_count 6
		.amdhsa_user_sgpr_private_segment_buffer 1
		.amdhsa_user_sgpr_dispatch_ptr 0
		.amdhsa_user_sgpr_queue_ptr 0
		.amdhsa_user_sgpr_kernarg_segment_ptr 1
		.amdhsa_user_sgpr_dispatch_id 0
		.amdhsa_user_sgpr_flat_scratch_init 0
		.amdhsa_user_sgpr_kernarg_preload_length 0
		.amdhsa_user_sgpr_kernarg_preload_offset 0
		.amdhsa_user_sgpr_private_segment_size 0
		.amdhsa_uses_dynamic_stack 0
		.amdhsa_system_sgpr_private_segment_wavefront_offset 0
		.amdhsa_system_sgpr_workgroup_id_x 1
		.amdhsa_system_sgpr_workgroup_id_y 0
		.amdhsa_system_sgpr_workgroup_id_z 0
		.amdhsa_system_sgpr_workgroup_info 0
		.amdhsa_system_vgpr_workitem_id 0
		.amdhsa_next_free_vgpr 18
		.amdhsa_next_free_sgpr 18
		.amdhsa_accum_offset 20
		.amdhsa_reserve_vcc 1
		.amdhsa_reserve_flat_scratch 0
		.amdhsa_float_round_mode_32 0
		.amdhsa_float_round_mode_16_64 0
		.amdhsa_float_denorm_mode_32 3
		.amdhsa_float_denorm_mode_16_64 3
		.amdhsa_dx10_clamp 1
		.amdhsa_ieee_mode 1
		.amdhsa_fp16_overflow 0
		.amdhsa_tg_split 0
		.amdhsa_exception_fp_ieee_invalid_op 0
		.amdhsa_exception_fp_denorm_src 0
		.amdhsa_exception_fp_ieee_div_zero 0
		.amdhsa_exception_fp_ieee_overflow 0
		.amdhsa_exception_fp_ieee_underflow 0
		.amdhsa_exception_fp_ieee_inexact 0
		.amdhsa_exception_int_div_zero 0
	.end_amdhsa_kernel
	.section	.text._ZN9rocsparseL24sddmm_coox_sample_kernelILi512ELb0EfllfEEvT3_S1_T2_PKT4_S1_PS3_PKS2_S8_21rocsparse_index_base_,"axG",@progbits,_ZN9rocsparseL24sddmm_coox_sample_kernelILi512ELb0EfllfEEvT3_S1_T2_PKT4_S1_PS3_PKS2_S8_21rocsparse_index_base_,comdat
.Lfunc_end30:
	.size	_ZN9rocsparseL24sddmm_coox_sample_kernelILi512ELb0EfllfEEvT3_S1_T2_PKT4_S1_PS3_PKS2_S8_21rocsparse_index_base_, .Lfunc_end30-_ZN9rocsparseL24sddmm_coox_sample_kernelILi512ELb0EfllfEEvT3_S1_T2_PKT4_S1_PS3_PKS2_S8_21rocsparse_index_base_
                                        ; -- End function
	.section	.AMDGPU.csdata,"",@progbits
; Kernel info:
; codeLenInByte = 316
; NumSgprs: 22
; NumVgprs: 18
; NumAgprs: 0
; TotalNumVgprs: 18
; ScratchSize: 0
; MemoryBound: 0
; FloatMode: 240
; IeeeMode: 1
; LDSByteSize: 0 bytes/workgroup (compile time only)
; SGPRBlocks: 2
; VGPRBlocks: 2
; NumSGPRsForWavesPerEU: 22
; NumVGPRsForWavesPerEU: 18
; AccumOffset: 20
; Occupancy: 8
; WaveLimiterHint : 1
; COMPUTE_PGM_RSRC2:SCRATCH_EN: 0
; COMPUTE_PGM_RSRC2:USER_SGPR: 6
; COMPUTE_PGM_RSRC2:TRAP_HANDLER: 0
; COMPUTE_PGM_RSRC2:TGID_X_EN: 1
; COMPUTE_PGM_RSRC2:TGID_Y_EN: 0
; COMPUTE_PGM_RSRC2:TGID_Z_EN: 0
; COMPUTE_PGM_RSRC2:TIDIG_COMP_CNT: 0
; COMPUTE_PGM_RSRC3_GFX90A:ACCUM_OFFSET: 4
; COMPUTE_PGM_RSRC3_GFX90A:TG_SPLIT: 0
	.section	.text._ZN9rocsparseL17sddmm_coox_kernelILi512ELi8ELb0EfllfffEEv20rocsparse_operation_S1_16rocsparse_order_S2_T4_S3_S3_T3_NS_24const_host_device_scalarIT2_EEPKT5_lPKT6_lS7_PT7_PKS4_SH_21rocsparse_index_base_b,"axG",@progbits,_ZN9rocsparseL17sddmm_coox_kernelILi512ELi8ELb0EfllfffEEv20rocsparse_operation_S1_16rocsparse_order_S2_T4_S3_S3_T3_NS_24const_host_device_scalarIT2_EEPKT5_lPKT6_lS7_PT7_PKS4_SH_21rocsparse_index_base_b,comdat
	.globl	_ZN9rocsparseL17sddmm_coox_kernelILi512ELi8ELb0EfllfffEEv20rocsparse_operation_S1_16rocsparse_order_S2_T4_S3_S3_T3_NS_24const_host_device_scalarIT2_EEPKT5_lPKT6_lS7_PT7_PKS4_SH_21rocsparse_index_base_b ; -- Begin function _ZN9rocsparseL17sddmm_coox_kernelILi512ELi8ELb0EfllfffEEv20rocsparse_operation_S1_16rocsparse_order_S2_T4_S3_S3_T3_NS_24const_host_device_scalarIT2_EEPKT5_lPKT6_lS7_PT7_PKS4_SH_21rocsparse_index_base_b
	.p2align	8
	.type	_ZN9rocsparseL17sddmm_coox_kernelILi512ELi8ELb0EfllfffEEv20rocsparse_operation_S1_16rocsparse_order_S2_T4_S3_S3_T3_NS_24const_host_device_scalarIT2_EEPKT5_lPKT6_lS7_PT7_PKS4_SH_21rocsparse_index_base_b,@function
_ZN9rocsparseL17sddmm_coox_kernelILi512ELi8ELb0EfllfffEEv20rocsparse_operation_S1_16rocsparse_order_S2_T4_S3_S3_T3_NS_24const_host_device_scalarIT2_EEPKT5_lPKT6_lS7_PT7_PKS4_SH_21rocsparse_index_base_b: ; @_ZN9rocsparseL17sddmm_coox_kernelILi512ELi8ELb0EfllfffEEv20rocsparse_operation_S1_16rocsparse_order_S2_T4_S3_S3_T3_NS_24const_host_device_scalarIT2_EEPKT5_lPKT6_lS7_PT7_PKS4_SH_21rocsparse_index_base_b
; %bb.0:
	s_load_dwordx2 s[18:19], s[4:5], 0x78
	s_load_dwordx2 s[16:17], s[4:5], 0x30
	s_load_dwordx4 s[0:3], s[4:5], 0x50
	s_waitcnt lgkmcnt(0)
	s_bitcmp1_b32 s19, 0
	s_cselect_b64 s[10:11], -1, 0
	s_xor_b64 s[8:9], s[10:11], -1
	s_and_b64 vcc, exec, s[10:11]
	s_cbranch_vccnz .LBB31_2
; %bb.1:
	s_load_dword s16, s[16:17], 0x0
.LBB31_2:
	s_andn2_b64 vcc, exec, s[8:9]
	s_cbranch_vccnz .LBB31_4
; %bb.3:
	s_load_dword s2, s[2:3], 0x0
.LBB31_4:
	s_waitcnt lgkmcnt(0)
	v_cmp_eq_f32_e64 s[8:9], s16, 0
	v_cmp_eq_f32_e64 s[10:11], s2, 1.0
	s_and_b64 s[8:9], s[8:9], s[10:11]
	s_and_b64 vcc, exec, s[8:9]
	s_cbranch_vccnz .LBB31_34
; %bb.5:
	s_load_dwordx4 s[8:11], s[4:5], 0x20
	v_lshrrev_b32_e32 v10, 3, v0
	v_lshl_or_b32 v2, s6, 6, v10
	v_mov_b32_e32 v3, 0
	s_waitcnt lgkmcnt(0)
	v_cmp_gt_i64_e32 vcc, s[10:11], v[2:3]
	s_and_saveexec_b64 s[6:7], vcc
	s_cbranch_execz .LBB31_34
; %bb.6:
	s_load_dwordx4 s[12:15], s[4:5], 0x68
	v_lshlrev_b64 v[4:5], 3, v[2:3]
	s_mov_b32 s3, 0
	s_waitcnt lgkmcnt(0)
	v_mov_b32_e32 v1, s13
	v_add_co_u32_e32 v6, vcc, s12, v4
	v_addc_co_u32_e32 v7, vcc, v1, v5, vcc
	global_load_dwordx2 v[8:9], v[6:7], off
	v_mov_b32_e32 v1, s15
	v_add_co_u32_e32 v4, vcc, s14, v4
	v_addc_co_u32_e32 v5, vcc, v1, v5, vcc
	global_load_dwordx2 v[6:7], v[4:5], off
	s_load_dwordx4 s[12:15], s[4:5], 0x0
	s_load_dwordx2 s[10:11], s[4:5], 0x40
	s_waitcnt lgkmcnt(0)
	s_cmp_eq_u32 s14, 1
	s_cselect_b64 s[20:21], -1, 0
	s_cmpk_eq_i32 s12, 0x6f
	s_cselect_b64 s[22:23], -1, 0
	s_cmpk_lg_i32 s12, 0x6f
	s_cselect_b64 s[6:7], -1, 0
	s_cmp_lg_u32 s14, 1
	s_waitcnt vmcnt(1)
	v_subrev_co_u32_e32 v8, vcc, s18, v8
	v_subbrev_co_u32_e32 v9, vcc, 0, v9, vcc
	s_cbranch_scc0 .LBB31_10
; %bb.7:
	s_andn2_b64 vcc, exec, s[22:23]
	v_pk_mov_b32 v[4:5], v[8:9], v[8:9] op_sel:[0,1]
	s_cbranch_vccnz .LBB31_9
; %bb.8:
	v_mul_lo_u32 v1, v9, s10
	v_mul_lo_u32 v11, v8, s11
	v_mad_u64_u32 v[4:5], s[24:25], v8, s10, 0
	v_add3_u32 v5, v5, v11, v1
.LBB31_9:
	s_cbranch_execz .LBB31_11
	s_branch .LBB31_14
.LBB31_10:
                                        ; implicit-def: $vgpr4_vgpr5
.LBB31_11:
	s_andn2_b64 vcc, exec, s[6:7]
	s_cbranch_vccnz .LBB31_13
; %bb.12:
	v_mul_lo_u32 v1, v9, s10
	v_mul_lo_u32 v4, v8, s11
	v_mad_u64_u32 v[8:9], s[6:7], v8, s10, 0
	v_add3_u32 v9, v9, v4, v1
.LBB31_13:
	v_pk_mov_b32 v[4:5], v[8:9], v[8:9] op_sel:[0,1]
.LBB31_14:
	s_cmp_eq_u32 s15, 1
	s_cselect_b64 s[24:25], -1, 0
	s_cmpk_eq_i32 s13, 0x6f
	v_mov_b32_e32 v1, s3
	s_cselect_b64 s[26:27], -1, 0
	s_cmpk_lg_i32 s13, 0x6f
	s_waitcnt vmcnt(0)
	v_subrev_co_u32_e32 v8, vcc, s18, v6
	s_cselect_b64 s[6:7], -1, 0
	s_cmp_lg_u32 s15, 1
	v_subb_co_u32_e32 v9, vcc, v7, v1, vcc
	s_cbranch_scc0 .LBB31_18
; %bb.15:
	s_andn2_b64 vcc, exec, s[6:7]
	v_pk_mov_b32 v[6:7], v[8:9], v[8:9] op_sel:[0,1]
	s_cbranch_vccnz .LBB31_17
; %bb.16:
	v_mul_lo_u32 v1, v9, s0
	v_mul_lo_u32 v11, v8, s1
	v_mad_u64_u32 v[6:7], s[6:7], v8, s0, 0
	v_add3_u32 v7, v7, v11, v1
.LBB31_17:
	s_cbranch_execz .LBB31_19
	s_branch .LBB31_22
.LBB31_18:
                                        ; implicit-def: $vgpr6_vgpr7
.LBB31_19:
	s_andn2_b64 vcc, exec, s[26:27]
	s_cbranch_vccnz .LBB31_21
; %bb.20:
	v_mul_lo_u32 v1, v9, s0
	v_mul_lo_u32 v6, v8, s1
	v_mad_u64_u32 v[8:9], s[6:7], v8, s0, 0
	v_add3_u32 v9, v9, v6, v1
.LBB31_21:
	v_pk_mov_b32 v[6:7], v[8:9], v[8:9] op_sel:[0,1]
.LBB31_22:
	s_load_dwordx2 s[6:7], s[4:5], 0x60
	v_and_b32_e32 v0, 7, v0
	v_mov_b32_e32 v1, 0
	v_cmp_gt_i64_e32 vcc, s[8:9], v[0:1]
	s_and_saveexec_b64 s[12:13], vcc
	s_cbranch_execz .LBB31_26
; %bb.23:
	s_load_dwordx2 s[14:15], s[4:5], 0x38
	s_load_dwordx2 s[18:19], s[4:5], 0x48
	s_xor_b64 s[4:5], s[22:23], s[20:21]
	s_and_b64 s[4:5], s[4:5], exec
	s_cselect_b32 s5, 0, s11
	s_cselect_b32 s4, 1, s10
	s_xor_b64 s[10:11], s[26:27], s[24:25]
	s_and_b64 s[10:11], s[10:11], exec
	s_cselect_b32 s0, s0, 1
	v_mad_u64_u32 v[8:9], s[10:11], s0, v0, 0
	s_cselect_b32 s1, s1, 0
	v_mov_b32_e32 v12, v9
	v_mad_u64_u32 v[12:13], s[10:11], s1, v0, v[12:13]
	v_mov_b32_e32 v9, v12
	v_lshlrev_b64 v[8:9], 2, v[8:9]
	v_lshlrev_b64 v[6:7], 2, v[6:7]
	v_add_co_u32_e32 v6, vcc, v8, v6
	v_addc_co_u32_e32 v7, vcc, v9, v7, vcc
	s_waitcnt lgkmcnt(0)
	v_mov_b32_e32 v8, s19
	v_add_co_u32_e32 v6, vcc, s18, v6
	v_addc_co_u32_e32 v7, vcc, v8, v7, vcc
	v_mad_u64_u32 v[8:9], s[10:11], s4, v0, 0
	v_mov_b32_e32 v12, v9
	v_mad_u64_u32 v[12:13], s[10:11], s5, v0, v[12:13]
	v_mov_b32_e32 v9, v12
	v_lshlrev_b64 v[8:9], 2, v[8:9]
	v_lshlrev_b64 v[4:5], 2, v[4:5]
	v_add_co_u32_e32 v4, vcc, v8, v4
	v_addc_co_u32_e32 v5, vcc, v9, v5, vcc
	s_lshl_b64 s[0:1], s[0:1], 5
	v_mov_b32_e32 v8, s15
	v_add_co_u32_e32 v4, vcc, s14, v4
	s_lshl_b64 s[10:11], s[4:5], 5
	v_mov_b32_e32 v13, 0
	v_addc_co_u32_e32 v5, vcc, v8, v5, vcc
	s_mov_b64 s[4:5], 0
	v_mov_b32_e32 v11, s1
	v_mov_b32_e32 v12, s11
	v_pk_mov_b32 v[8:9], v[0:1], v[0:1] op_sel:[0,1]
	v_mov_b32_e32 v1, v13
.LBB31_24:                              ; =>This Inner Loop Header: Depth=1
	global_load_dword v13, v[4:5], off
	global_load_dword v14, v[6:7], off
	v_add_co_u32_e32 v8, vcc, 8, v8
	v_addc_co_u32_e32 v9, vcc, 0, v9, vcc
	v_add_co_u32_e32 v6, vcc, s0, v6
	v_addc_co_u32_e32 v7, vcc, v7, v11, vcc
	;; [unrolled: 2-line block ×3, first 2 shown]
	v_cmp_le_i64_e32 vcc, s[8:9], v[8:9]
	s_or_b64 s[4:5], vcc, s[4:5]
	s_waitcnt vmcnt(0)
	v_fmac_f32_e32 v1, v13, v14
	s_andn2_b64 exec, exec, s[4:5]
	s_cbranch_execnz .LBB31_24
; %bb.25:
	s_or_b64 exec, exec, s[4:5]
.LBB31_26:
	s_or_b64 exec, exec, s[12:13]
	v_lshlrev_b32_e32 v4, 2, v0
	v_lshl_or_b32 v4, v10, 5, v4
	v_cmp_gt_u32_e32 vcc, 4, v0
	ds_write_b32 v4, v1
	s_waitcnt lgkmcnt(0)
	s_barrier
	s_and_saveexec_b64 s[0:1], vcc
	s_cbranch_execz .LBB31_28
; %bb.27:
	ds_read2_b32 v[6:7], v4 offset1:4
	s_waitcnt lgkmcnt(0)
	v_add_f32_e32 v1, v7, v6
	ds_write_b32 v4, v1
.LBB31_28:
	s_or_b64 exec, exec, s[0:1]
	v_cmp_gt_u32_e32 vcc, 2, v0
	s_waitcnt lgkmcnt(0)
	s_barrier
	s_and_saveexec_b64 s[0:1], vcc
	s_cbranch_execz .LBB31_30
; %bb.29:
	ds_read2_b32 v[6:7], v4 offset1:2
	s_waitcnt lgkmcnt(0)
	v_add_f32_e32 v1, v7, v6
	ds_write_b32 v4, v1
.LBB31_30:
	s_or_b64 exec, exec, s[0:1]
	v_cmp_eq_u32_e32 vcc, 0, v0
	v_lshlrev_b32_e32 v0, 5, v10
	s_waitcnt lgkmcnt(0)
	s_barrier
	s_and_saveexec_b64 s[0:1], vcc
	s_cbranch_execz .LBB31_32
; %bb.31:
	ds_read_b32 v1, v0 offset:4
	ds_read_b32 v5, v4
	s_waitcnt lgkmcnt(0)
	v_add_f32_e32 v1, v1, v5
	ds_write_b32 v4, v1
.LBB31_32:
	s_or_b64 exec, exec, s[0:1]
	s_waitcnt lgkmcnt(0)
	s_barrier
	s_and_b64 exec, exec, vcc
	s_cbranch_execz .LBB31_34
; %bb.33:
	v_lshlrev_b64 v[2:3], 2, v[2:3]
	v_mov_b32_e32 v1, s7
	v_add_co_u32_e32 v2, vcc, s6, v2
	v_addc_co_u32_e32 v3, vcc, v1, v3, vcc
	global_load_dword v1, v[2:3], off
	ds_read_b32 v0, v0
	s_waitcnt lgkmcnt(0)
	v_mul_f32_e32 v0, s16, v0
	s_waitcnt vmcnt(0)
	v_fmac_f32_e32 v0, s2, v1
	global_store_dword v[2:3], v0, off
.LBB31_34:
	s_endpgm
	.section	.rodata,"a",@progbits
	.p2align	6, 0x0
	.amdhsa_kernel _ZN9rocsparseL17sddmm_coox_kernelILi512ELi8ELb0EfllfffEEv20rocsparse_operation_S1_16rocsparse_order_S2_T4_S3_S3_T3_NS_24const_host_device_scalarIT2_EEPKT5_lPKT6_lS7_PT7_PKS4_SH_21rocsparse_index_base_b
		.amdhsa_group_segment_fixed_size 2048
		.amdhsa_private_segment_fixed_size 0
		.amdhsa_kernarg_size 128
		.amdhsa_user_sgpr_count 6
		.amdhsa_user_sgpr_private_segment_buffer 1
		.amdhsa_user_sgpr_dispatch_ptr 0
		.amdhsa_user_sgpr_queue_ptr 0
		.amdhsa_user_sgpr_kernarg_segment_ptr 1
		.amdhsa_user_sgpr_dispatch_id 0
		.amdhsa_user_sgpr_flat_scratch_init 0
		.amdhsa_user_sgpr_kernarg_preload_length 0
		.amdhsa_user_sgpr_kernarg_preload_offset 0
		.amdhsa_user_sgpr_private_segment_size 0
		.amdhsa_uses_dynamic_stack 0
		.amdhsa_system_sgpr_private_segment_wavefront_offset 0
		.amdhsa_system_sgpr_workgroup_id_x 1
		.amdhsa_system_sgpr_workgroup_id_y 0
		.amdhsa_system_sgpr_workgroup_id_z 0
		.amdhsa_system_sgpr_workgroup_info 0
		.amdhsa_system_vgpr_workitem_id 0
		.amdhsa_next_free_vgpr 15
		.amdhsa_next_free_sgpr 28
		.amdhsa_accum_offset 16
		.amdhsa_reserve_vcc 1
		.amdhsa_reserve_flat_scratch 0
		.amdhsa_float_round_mode_32 0
		.amdhsa_float_round_mode_16_64 0
		.amdhsa_float_denorm_mode_32 3
		.amdhsa_float_denorm_mode_16_64 3
		.amdhsa_dx10_clamp 1
		.amdhsa_ieee_mode 1
		.amdhsa_fp16_overflow 0
		.amdhsa_tg_split 0
		.amdhsa_exception_fp_ieee_invalid_op 0
		.amdhsa_exception_fp_denorm_src 0
		.amdhsa_exception_fp_ieee_div_zero 0
		.amdhsa_exception_fp_ieee_overflow 0
		.amdhsa_exception_fp_ieee_underflow 0
		.amdhsa_exception_fp_ieee_inexact 0
		.amdhsa_exception_int_div_zero 0
	.end_amdhsa_kernel
	.section	.text._ZN9rocsparseL17sddmm_coox_kernelILi512ELi8ELb0EfllfffEEv20rocsparse_operation_S1_16rocsparse_order_S2_T4_S3_S3_T3_NS_24const_host_device_scalarIT2_EEPKT5_lPKT6_lS7_PT7_PKS4_SH_21rocsparse_index_base_b,"axG",@progbits,_ZN9rocsparseL17sddmm_coox_kernelILi512ELi8ELb0EfllfffEEv20rocsparse_operation_S1_16rocsparse_order_S2_T4_S3_S3_T3_NS_24const_host_device_scalarIT2_EEPKT5_lPKT6_lS7_PT7_PKS4_SH_21rocsparse_index_base_b,comdat
.Lfunc_end31:
	.size	_ZN9rocsparseL17sddmm_coox_kernelILi512ELi8ELb0EfllfffEEv20rocsparse_operation_S1_16rocsparse_order_S2_T4_S3_S3_T3_NS_24const_host_device_scalarIT2_EEPKT5_lPKT6_lS7_PT7_PKS4_SH_21rocsparse_index_base_b, .Lfunc_end31-_ZN9rocsparseL17sddmm_coox_kernelILi512ELi8ELb0EfllfffEEv20rocsparse_operation_S1_16rocsparse_order_S2_T4_S3_S3_T3_NS_24const_host_device_scalarIT2_EEPKT5_lPKT6_lS7_PT7_PKS4_SH_21rocsparse_index_base_b
                                        ; -- End function
	.section	.AMDGPU.csdata,"",@progbits
; Kernel info:
; codeLenInByte = 1092
; NumSgprs: 32
; NumVgprs: 15
; NumAgprs: 0
; TotalNumVgprs: 15
; ScratchSize: 0
; MemoryBound: 0
; FloatMode: 240
; IeeeMode: 1
; LDSByteSize: 2048 bytes/workgroup (compile time only)
; SGPRBlocks: 3
; VGPRBlocks: 1
; NumSGPRsForWavesPerEU: 32
; NumVGPRsForWavesPerEU: 15
; AccumOffset: 16
; Occupancy: 8
; WaveLimiterHint : 0
; COMPUTE_PGM_RSRC2:SCRATCH_EN: 0
; COMPUTE_PGM_RSRC2:USER_SGPR: 6
; COMPUTE_PGM_RSRC2:TRAP_HANDLER: 0
; COMPUTE_PGM_RSRC2:TGID_X_EN: 1
; COMPUTE_PGM_RSRC2:TGID_Y_EN: 0
; COMPUTE_PGM_RSRC2:TGID_Z_EN: 0
; COMPUTE_PGM_RSRC2:TIDIG_COMP_CNT: 0
; COMPUTE_PGM_RSRC3_GFX90A:ACCUM_OFFSET: 3
; COMPUTE_PGM_RSRC3_GFX90A:TG_SPLIT: 0
	.section	.text._ZN9rocsparseL17sddmm_coox_kernelILi512ELi4ELb0EfllfffEEv20rocsparse_operation_S1_16rocsparse_order_S2_T4_S3_S3_T3_NS_24const_host_device_scalarIT2_EEPKT5_lPKT6_lS7_PT7_PKS4_SH_21rocsparse_index_base_b,"axG",@progbits,_ZN9rocsparseL17sddmm_coox_kernelILi512ELi4ELb0EfllfffEEv20rocsparse_operation_S1_16rocsparse_order_S2_T4_S3_S3_T3_NS_24const_host_device_scalarIT2_EEPKT5_lPKT6_lS7_PT7_PKS4_SH_21rocsparse_index_base_b,comdat
	.globl	_ZN9rocsparseL17sddmm_coox_kernelILi512ELi4ELb0EfllfffEEv20rocsparse_operation_S1_16rocsparse_order_S2_T4_S3_S3_T3_NS_24const_host_device_scalarIT2_EEPKT5_lPKT6_lS7_PT7_PKS4_SH_21rocsparse_index_base_b ; -- Begin function _ZN9rocsparseL17sddmm_coox_kernelILi512ELi4ELb0EfllfffEEv20rocsparse_operation_S1_16rocsparse_order_S2_T4_S3_S3_T3_NS_24const_host_device_scalarIT2_EEPKT5_lPKT6_lS7_PT7_PKS4_SH_21rocsparse_index_base_b
	.p2align	8
	.type	_ZN9rocsparseL17sddmm_coox_kernelILi512ELi4ELb0EfllfffEEv20rocsparse_operation_S1_16rocsparse_order_S2_T4_S3_S3_T3_NS_24const_host_device_scalarIT2_EEPKT5_lPKT6_lS7_PT7_PKS4_SH_21rocsparse_index_base_b,@function
_ZN9rocsparseL17sddmm_coox_kernelILi512ELi4ELb0EfllfffEEv20rocsparse_operation_S1_16rocsparse_order_S2_T4_S3_S3_T3_NS_24const_host_device_scalarIT2_EEPKT5_lPKT6_lS7_PT7_PKS4_SH_21rocsparse_index_base_b: ; @_ZN9rocsparseL17sddmm_coox_kernelILi512ELi4ELb0EfllfffEEv20rocsparse_operation_S1_16rocsparse_order_S2_T4_S3_S3_T3_NS_24const_host_device_scalarIT2_EEPKT5_lPKT6_lS7_PT7_PKS4_SH_21rocsparse_index_base_b
; %bb.0:
	s_load_dwordx2 s[18:19], s[4:5], 0x78
	s_load_dwordx2 s[16:17], s[4:5], 0x30
	s_load_dwordx4 s[0:3], s[4:5], 0x50
	s_waitcnt lgkmcnt(0)
	s_bitcmp1_b32 s19, 0
	s_cselect_b64 s[10:11], -1, 0
	s_xor_b64 s[8:9], s[10:11], -1
	s_and_b64 vcc, exec, s[10:11]
	s_cbranch_vccnz .LBB32_2
; %bb.1:
	s_load_dword s16, s[16:17], 0x0
.LBB32_2:
	s_andn2_b64 vcc, exec, s[8:9]
	s_cbranch_vccnz .LBB32_4
; %bb.3:
	s_load_dword s2, s[2:3], 0x0
.LBB32_4:
	s_waitcnt lgkmcnt(0)
	v_cmp_eq_f32_e64 s[8:9], s16, 0
	v_cmp_eq_f32_e64 s[10:11], s2, 1.0
	s_and_b64 s[8:9], s[8:9], s[10:11]
	s_and_b64 vcc, exec, s[8:9]
	s_cbranch_vccnz .LBB32_32
; %bb.5:
	s_load_dwordx4 s[8:11], s[4:5], 0x20
	v_lshrrev_b32_e32 v10, 2, v0
	v_lshl_or_b32 v2, s6, 7, v10
	v_mov_b32_e32 v3, 0
	s_waitcnt lgkmcnt(0)
	v_cmp_gt_i64_e32 vcc, s[10:11], v[2:3]
	s_and_saveexec_b64 s[6:7], vcc
	s_cbranch_execz .LBB32_32
; %bb.6:
	s_load_dwordx4 s[12:15], s[4:5], 0x68
	v_lshlrev_b64 v[4:5], 3, v[2:3]
	s_mov_b32 s3, 0
	s_waitcnt lgkmcnt(0)
	v_mov_b32_e32 v1, s13
	v_add_co_u32_e32 v6, vcc, s12, v4
	v_addc_co_u32_e32 v7, vcc, v1, v5, vcc
	global_load_dwordx2 v[8:9], v[6:7], off
	v_mov_b32_e32 v1, s15
	v_add_co_u32_e32 v4, vcc, s14, v4
	v_addc_co_u32_e32 v5, vcc, v1, v5, vcc
	global_load_dwordx2 v[6:7], v[4:5], off
	s_load_dwordx4 s[12:15], s[4:5], 0x0
	s_load_dwordx2 s[6:7], s[4:5], 0x40
	s_waitcnt lgkmcnt(0)
	s_cmp_eq_u32 s14, 1
	s_cselect_b64 s[20:21], -1, 0
	s_cmpk_eq_i32 s12, 0x6f
	s_cselect_b64 s[22:23], -1, 0
	s_cmpk_lg_i32 s12, 0x6f
	s_cselect_b64 s[10:11], -1, 0
	s_cmp_lg_u32 s14, 1
	s_waitcnt vmcnt(1)
	v_subrev_co_u32_e32 v8, vcc, s18, v8
	v_subbrev_co_u32_e32 v9, vcc, 0, v9, vcc
	s_cbranch_scc0 .LBB32_10
; %bb.7:
	s_andn2_b64 vcc, exec, s[22:23]
	v_pk_mov_b32 v[4:5], v[8:9], v[8:9] op_sel:[0,1]
	s_cbranch_vccnz .LBB32_9
; %bb.8:
	v_mul_lo_u32 v1, v9, s6
	v_mul_lo_u32 v11, v8, s7
	v_mad_u64_u32 v[4:5], s[24:25], v8, s6, 0
	v_add3_u32 v5, v5, v11, v1
.LBB32_9:
	s_cbranch_execz .LBB32_11
	s_branch .LBB32_14
.LBB32_10:
                                        ; implicit-def: $vgpr4_vgpr5
.LBB32_11:
	s_andn2_b64 vcc, exec, s[10:11]
	s_cbranch_vccnz .LBB32_13
; %bb.12:
	v_mul_lo_u32 v1, v9, s6
	v_mul_lo_u32 v4, v8, s7
	v_mad_u64_u32 v[8:9], s[10:11], v8, s6, 0
	v_add3_u32 v9, v9, v4, v1
.LBB32_13:
	v_pk_mov_b32 v[4:5], v[8:9], v[8:9] op_sel:[0,1]
.LBB32_14:
	s_cmp_eq_u32 s15, 1
	s_cselect_b64 s[24:25], -1, 0
	s_cmpk_eq_i32 s13, 0x6f
	v_mov_b32_e32 v1, s3
	s_cselect_b64 s[26:27], -1, 0
	s_cmpk_lg_i32 s13, 0x6f
	s_waitcnt vmcnt(0)
	v_subrev_co_u32_e32 v8, vcc, s18, v6
	s_cselect_b64 s[10:11], -1, 0
	s_cmp_lg_u32 s15, 1
	v_subb_co_u32_e32 v9, vcc, v7, v1, vcc
	s_cbranch_scc0 .LBB32_18
; %bb.15:
	s_andn2_b64 vcc, exec, s[10:11]
	v_pk_mov_b32 v[6:7], v[8:9], v[8:9] op_sel:[0,1]
	s_cbranch_vccnz .LBB32_17
; %bb.16:
	v_mul_lo_u32 v1, v9, s0
	v_mul_lo_u32 v11, v8, s1
	v_mad_u64_u32 v[6:7], s[10:11], v8, s0, 0
	v_add3_u32 v7, v7, v11, v1
.LBB32_17:
	s_cbranch_execz .LBB32_19
	s_branch .LBB32_22
.LBB32_18:
                                        ; implicit-def: $vgpr6_vgpr7
.LBB32_19:
	s_andn2_b64 vcc, exec, s[26:27]
	s_cbranch_vccnz .LBB32_21
; %bb.20:
	v_mul_lo_u32 v1, v9, s0
	v_mul_lo_u32 v6, v8, s1
	v_mad_u64_u32 v[8:9], s[10:11], v8, s0, 0
	v_add3_u32 v9, v9, v6, v1
.LBB32_21:
	v_pk_mov_b32 v[6:7], v[8:9], v[8:9] op_sel:[0,1]
.LBB32_22:
	s_load_dwordx2 s[10:11], s[4:5], 0x60
	v_and_b32_e32 v0, 3, v0
	v_mov_b32_e32 v1, 0
	v_cmp_gt_i64_e32 vcc, s[8:9], v[0:1]
	s_and_saveexec_b64 s[12:13], vcc
	s_cbranch_execz .LBB32_26
; %bb.23:
	s_load_dwordx2 s[14:15], s[4:5], 0x38
	s_load_dwordx2 s[18:19], s[4:5], 0x48
	s_xor_b64 s[4:5], s[22:23], s[20:21]
	s_and_b64 s[4:5], s[4:5], exec
	s_cselect_b32 s5, 0, s7
	s_cselect_b32 s4, 1, s6
	s_xor_b64 s[6:7], s[26:27], s[24:25]
	s_and_b64 s[6:7], s[6:7], exec
	s_cselect_b32 s0, s0, 1
	v_mad_u64_u32 v[8:9], s[6:7], s0, v0, 0
	s_cselect_b32 s1, s1, 0
	v_mov_b32_e32 v12, v9
	v_mad_u64_u32 v[12:13], s[6:7], s1, v0, v[12:13]
	v_mov_b32_e32 v9, v12
	v_lshlrev_b64 v[8:9], 2, v[8:9]
	v_lshlrev_b64 v[6:7], 2, v[6:7]
	v_add_co_u32_e32 v6, vcc, v8, v6
	v_addc_co_u32_e32 v7, vcc, v9, v7, vcc
	s_waitcnt lgkmcnt(0)
	v_mov_b32_e32 v8, s19
	v_add_co_u32_e32 v6, vcc, s18, v6
	v_addc_co_u32_e32 v7, vcc, v8, v7, vcc
	v_mad_u64_u32 v[8:9], s[6:7], s4, v0, 0
	v_mov_b32_e32 v12, v9
	v_mad_u64_u32 v[12:13], s[6:7], s5, v0, v[12:13]
	v_mov_b32_e32 v9, v12
	v_lshlrev_b64 v[8:9], 2, v[8:9]
	v_lshlrev_b64 v[4:5], 2, v[4:5]
	v_add_co_u32_e32 v4, vcc, v8, v4
	v_addc_co_u32_e32 v5, vcc, v9, v5, vcc
	s_lshl_b64 s[0:1], s[0:1], 4
	v_mov_b32_e32 v8, s15
	v_add_co_u32_e32 v4, vcc, s14, v4
	s_lshl_b64 s[6:7], s[4:5], 4
	v_mov_b32_e32 v13, 0
	v_addc_co_u32_e32 v5, vcc, v8, v5, vcc
	s_mov_b64 s[4:5], 0
	v_mov_b32_e32 v11, s1
	v_mov_b32_e32 v12, s7
	v_pk_mov_b32 v[8:9], v[0:1], v[0:1] op_sel:[0,1]
	v_mov_b32_e32 v1, v13
.LBB32_24:                              ; =>This Inner Loop Header: Depth=1
	global_load_dword v13, v[4:5], off
	global_load_dword v14, v[6:7], off
	v_add_co_u32_e32 v8, vcc, 4, v8
	v_addc_co_u32_e32 v9, vcc, 0, v9, vcc
	v_add_co_u32_e32 v6, vcc, s0, v6
	v_addc_co_u32_e32 v7, vcc, v7, v11, vcc
	;; [unrolled: 2-line block ×3, first 2 shown]
	v_cmp_le_i64_e32 vcc, s[8:9], v[8:9]
	s_or_b64 s[4:5], vcc, s[4:5]
	s_waitcnt vmcnt(0)
	v_fmac_f32_e32 v1, v13, v14
	s_andn2_b64 exec, exec, s[4:5]
	s_cbranch_execnz .LBB32_24
; %bb.25:
	s_or_b64 exec, exec, s[4:5]
.LBB32_26:
	s_or_b64 exec, exec, s[12:13]
	v_lshlrev_b32_e32 v4, 2, v0
	v_lshl_or_b32 v4, v10, 4, v4
	v_cmp_gt_u32_e32 vcc, 2, v0
	ds_write_b32 v4, v1
	s_waitcnt lgkmcnt(0)
	s_barrier
	s_and_saveexec_b64 s[0:1], vcc
	s_cbranch_execz .LBB32_28
; %bb.27:
	ds_read2_b32 v[6:7], v4 offset1:2
	s_waitcnt lgkmcnt(0)
	v_add_f32_e32 v1, v7, v6
	ds_write_b32 v4, v1
.LBB32_28:
	s_or_b64 exec, exec, s[0:1]
	v_cmp_eq_u32_e32 vcc, 0, v0
	v_lshlrev_b32_e32 v0, 4, v10
	s_waitcnt lgkmcnt(0)
	s_barrier
	s_and_saveexec_b64 s[0:1], vcc
	s_cbranch_execz .LBB32_30
; %bb.29:
	ds_read_b32 v1, v0 offset:4
	ds_read_b32 v5, v4
	s_waitcnt lgkmcnt(0)
	v_add_f32_e32 v1, v1, v5
	ds_write_b32 v4, v1
.LBB32_30:
	s_or_b64 exec, exec, s[0:1]
	s_waitcnt lgkmcnt(0)
	s_barrier
	s_and_b64 exec, exec, vcc
	s_cbranch_execz .LBB32_32
; %bb.31:
	v_lshlrev_b64 v[2:3], 2, v[2:3]
	v_mov_b32_e32 v1, s11
	v_add_co_u32_e32 v2, vcc, s10, v2
	v_addc_co_u32_e32 v3, vcc, v1, v3, vcc
	global_load_dword v1, v[2:3], off
	ds_read_b32 v0, v0
	s_waitcnt lgkmcnt(0)
	v_mul_f32_e32 v0, s16, v0
	s_waitcnt vmcnt(0)
	v_fmac_f32_e32 v0, s2, v1
	global_store_dword v[2:3], v0, off
.LBB32_32:
	s_endpgm
	.section	.rodata,"a",@progbits
	.p2align	6, 0x0
	.amdhsa_kernel _ZN9rocsparseL17sddmm_coox_kernelILi512ELi4ELb0EfllfffEEv20rocsparse_operation_S1_16rocsparse_order_S2_T4_S3_S3_T3_NS_24const_host_device_scalarIT2_EEPKT5_lPKT6_lS7_PT7_PKS4_SH_21rocsparse_index_base_b
		.amdhsa_group_segment_fixed_size 2048
		.amdhsa_private_segment_fixed_size 0
		.amdhsa_kernarg_size 128
		.amdhsa_user_sgpr_count 6
		.amdhsa_user_sgpr_private_segment_buffer 1
		.amdhsa_user_sgpr_dispatch_ptr 0
		.amdhsa_user_sgpr_queue_ptr 0
		.amdhsa_user_sgpr_kernarg_segment_ptr 1
		.amdhsa_user_sgpr_dispatch_id 0
		.amdhsa_user_sgpr_flat_scratch_init 0
		.amdhsa_user_sgpr_kernarg_preload_length 0
		.amdhsa_user_sgpr_kernarg_preload_offset 0
		.amdhsa_user_sgpr_private_segment_size 0
		.amdhsa_uses_dynamic_stack 0
		.amdhsa_system_sgpr_private_segment_wavefront_offset 0
		.amdhsa_system_sgpr_workgroup_id_x 1
		.amdhsa_system_sgpr_workgroup_id_y 0
		.amdhsa_system_sgpr_workgroup_id_z 0
		.amdhsa_system_sgpr_workgroup_info 0
		.amdhsa_system_vgpr_workitem_id 0
		.amdhsa_next_free_vgpr 15
		.amdhsa_next_free_sgpr 28
		.amdhsa_accum_offset 16
		.amdhsa_reserve_vcc 1
		.amdhsa_reserve_flat_scratch 0
		.amdhsa_float_round_mode_32 0
		.amdhsa_float_round_mode_16_64 0
		.amdhsa_float_denorm_mode_32 3
		.amdhsa_float_denorm_mode_16_64 3
		.amdhsa_dx10_clamp 1
		.amdhsa_ieee_mode 1
		.amdhsa_fp16_overflow 0
		.amdhsa_tg_split 0
		.amdhsa_exception_fp_ieee_invalid_op 0
		.amdhsa_exception_fp_denorm_src 0
		.amdhsa_exception_fp_ieee_div_zero 0
		.amdhsa_exception_fp_ieee_overflow 0
		.amdhsa_exception_fp_ieee_underflow 0
		.amdhsa_exception_fp_ieee_inexact 0
		.amdhsa_exception_int_div_zero 0
	.end_amdhsa_kernel
	.section	.text._ZN9rocsparseL17sddmm_coox_kernelILi512ELi4ELb0EfllfffEEv20rocsparse_operation_S1_16rocsparse_order_S2_T4_S3_S3_T3_NS_24const_host_device_scalarIT2_EEPKT5_lPKT6_lS7_PT7_PKS4_SH_21rocsparse_index_base_b,"axG",@progbits,_ZN9rocsparseL17sddmm_coox_kernelILi512ELi4ELb0EfllfffEEv20rocsparse_operation_S1_16rocsparse_order_S2_T4_S3_S3_T3_NS_24const_host_device_scalarIT2_EEPKT5_lPKT6_lS7_PT7_PKS4_SH_21rocsparse_index_base_b,comdat
.Lfunc_end32:
	.size	_ZN9rocsparseL17sddmm_coox_kernelILi512ELi4ELb0EfllfffEEv20rocsparse_operation_S1_16rocsparse_order_S2_T4_S3_S3_T3_NS_24const_host_device_scalarIT2_EEPKT5_lPKT6_lS7_PT7_PKS4_SH_21rocsparse_index_base_b, .Lfunc_end32-_ZN9rocsparseL17sddmm_coox_kernelILi512ELi4ELb0EfllfffEEv20rocsparse_operation_S1_16rocsparse_order_S2_T4_S3_S3_T3_NS_24const_host_device_scalarIT2_EEPKT5_lPKT6_lS7_PT7_PKS4_SH_21rocsparse_index_base_b
                                        ; -- End function
	.section	.AMDGPU.csdata,"",@progbits
; Kernel info:
; codeLenInByte = 1044
; NumSgprs: 32
; NumVgprs: 15
; NumAgprs: 0
; TotalNumVgprs: 15
; ScratchSize: 0
; MemoryBound: 0
; FloatMode: 240
; IeeeMode: 1
; LDSByteSize: 2048 bytes/workgroup (compile time only)
; SGPRBlocks: 3
; VGPRBlocks: 1
; NumSGPRsForWavesPerEU: 32
; NumVGPRsForWavesPerEU: 15
; AccumOffset: 16
; Occupancy: 8
; WaveLimiterHint : 0
; COMPUTE_PGM_RSRC2:SCRATCH_EN: 0
; COMPUTE_PGM_RSRC2:USER_SGPR: 6
; COMPUTE_PGM_RSRC2:TRAP_HANDLER: 0
; COMPUTE_PGM_RSRC2:TGID_X_EN: 1
; COMPUTE_PGM_RSRC2:TGID_Y_EN: 0
; COMPUTE_PGM_RSRC2:TGID_Z_EN: 0
; COMPUTE_PGM_RSRC2:TIDIG_COMP_CNT: 0
; COMPUTE_PGM_RSRC3_GFX90A:ACCUM_OFFSET: 3
; COMPUTE_PGM_RSRC3_GFX90A:TG_SPLIT: 0
	.section	.text._ZN9rocsparseL17sddmm_coox_kernelILi512ELi2ELb0EfllfffEEv20rocsparse_operation_S1_16rocsparse_order_S2_T4_S3_S3_T3_NS_24const_host_device_scalarIT2_EEPKT5_lPKT6_lS7_PT7_PKS4_SH_21rocsparse_index_base_b,"axG",@progbits,_ZN9rocsparseL17sddmm_coox_kernelILi512ELi2ELb0EfllfffEEv20rocsparse_operation_S1_16rocsparse_order_S2_T4_S3_S3_T3_NS_24const_host_device_scalarIT2_EEPKT5_lPKT6_lS7_PT7_PKS4_SH_21rocsparse_index_base_b,comdat
	.globl	_ZN9rocsparseL17sddmm_coox_kernelILi512ELi2ELb0EfllfffEEv20rocsparse_operation_S1_16rocsparse_order_S2_T4_S3_S3_T3_NS_24const_host_device_scalarIT2_EEPKT5_lPKT6_lS7_PT7_PKS4_SH_21rocsparse_index_base_b ; -- Begin function _ZN9rocsparseL17sddmm_coox_kernelILi512ELi2ELb0EfllfffEEv20rocsparse_operation_S1_16rocsparse_order_S2_T4_S3_S3_T3_NS_24const_host_device_scalarIT2_EEPKT5_lPKT6_lS7_PT7_PKS4_SH_21rocsparse_index_base_b
	.p2align	8
	.type	_ZN9rocsparseL17sddmm_coox_kernelILi512ELi2ELb0EfllfffEEv20rocsparse_operation_S1_16rocsparse_order_S2_T4_S3_S3_T3_NS_24const_host_device_scalarIT2_EEPKT5_lPKT6_lS7_PT7_PKS4_SH_21rocsparse_index_base_b,@function
_ZN9rocsparseL17sddmm_coox_kernelILi512ELi2ELb0EfllfffEEv20rocsparse_operation_S1_16rocsparse_order_S2_T4_S3_S3_T3_NS_24const_host_device_scalarIT2_EEPKT5_lPKT6_lS7_PT7_PKS4_SH_21rocsparse_index_base_b: ; @_ZN9rocsparseL17sddmm_coox_kernelILi512ELi2ELb0EfllfffEEv20rocsparse_operation_S1_16rocsparse_order_S2_T4_S3_S3_T3_NS_24const_host_device_scalarIT2_EEPKT5_lPKT6_lS7_PT7_PKS4_SH_21rocsparse_index_base_b
; %bb.0:
	s_load_dwordx2 s[18:19], s[4:5], 0x78
	s_load_dwordx2 s[16:17], s[4:5], 0x30
	s_load_dwordx4 s[0:3], s[4:5], 0x50
	s_waitcnt lgkmcnt(0)
	s_bitcmp1_b32 s19, 0
	s_cselect_b64 s[10:11], -1, 0
	s_xor_b64 s[8:9], s[10:11], -1
	s_and_b64 vcc, exec, s[10:11]
	s_cbranch_vccnz .LBB33_2
; %bb.1:
	s_load_dword s16, s[16:17], 0x0
.LBB33_2:
	s_andn2_b64 vcc, exec, s[8:9]
	s_cbranch_vccnz .LBB33_4
; %bb.3:
	s_load_dword s2, s[2:3], 0x0
.LBB33_4:
	s_waitcnt lgkmcnt(0)
	v_cmp_eq_f32_e64 s[8:9], s16, 0
	v_cmp_eq_f32_e64 s[10:11], s2, 1.0
	s_and_b64 s[8:9], s[8:9], s[10:11]
	s_and_b64 vcc, exec, s[8:9]
	s_cbranch_vccnz .LBB33_30
; %bb.5:
	s_load_dwordx4 s[8:11], s[4:5], 0x20
	v_lshrrev_b32_e32 v10, 1, v0
	v_lshl_or_b32 v2, s6, 8, v10
	v_mov_b32_e32 v3, 0
	s_waitcnt lgkmcnt(0)
	v_cmp_gt_i64_e32 vcc, s[10:11], v[2:3]
	s_and_saveexec_b64 s[6:7], vcc
	s_cbranch_execz .LBB33_30
; %bb.6:
	s_load_dwordx4 s[12:15], s[4:5], 0x68
	v_lshlrev_b64 v[4:5], 3, v[2:3]
	s_mov_b32 s3, 0
	s_waitcnt lgkmcnt(0)
	v_mov_b32_e32 v1, s13
	v_add_co_u32_e32 v6, vcc, s12, v4
	v_addc_co_u32_e32 v7, vcc, v1, v5, vcc
	global_load_dwordx2 v[8:9], v[6:7], off
	v_mov_b32_e32 v1, s15
	v_add_co_u32_e32 v4, vcc, s14, v4
	v_addc_co_u32_e32 v5, vcc, v1, v5, vcc
	global_load_dwordx2 v[6:7], v[4:5], off
	s_load_dwordx4 s[12:15], s[4:5], 0x0
	s_load_dwordx2 s[6:7], s[4:5], 0x40
	s_waitcnt lgkmcnt(0)
	s_cmp_eq_u32 s14, 1
	s_cselect_b64 s[10:11], -1, 0
	s_cmpk_eq_i32 s12, 0x6f
	s_cselect_b64 s[20:21], -1, 0
	s_cmpk_lg_i32 s12, 0x6f
	s_cselect_b64 s[22:23], -1, 0
	s_cmp_lg_u32 s14, 1
	s_waitcnt vmcnt(1)
	v_subrev_co_u32_e32 v8, vcc, s18, v8
	v_subbrev_co_u32_e32 v9, vcc, 0, v9, vcc
	s_cbranch_scc0 .LBB33_10
; %bb.7:
	s_andn2_b64 vcc, exec, s[20:21]
	v_pk_mov_b32 v[4:5], v[8:9], v[8:9] op_sel:[0,1]
	s_cbranch_vccnz .LBB33_9
; %bb.8:
	v_mul_lo_u32 v1, v9, s6
	v_mul_lo_u32 v11, v8, s7
	v_mad_u64_u32 v[4:5], s[24:25], v8, s6, 0
	v_add3_u32 v5, v5, v11, v1
.LBB33_9:
	s_cbranch_execz .LBB33_11
	s_branch .LBB33_14
.LBB33_10:
                                        ; implicit-def: $vgpr4_vgpr5
.LBB33_11:
	s_andn2_b64 vcc, exec, s[22:23]
	s_cbranch_vccnz .LBB33_13
; %bb.12:
	v_mul_lo_u32 v1, v9, s6
	v_mul_lo_u32 v4, v8, s7
	v_mad_u64_u32 v[8:9], s[22:23], v8, s6, 0
	v_add3_u32 v9, v9, v4, v1
.LBB33_13:
	v_pk_mov_b32 v[4:5], v[8:9], v[8:9] op_sel:[0,1]
.LBB33_14:
	s_cmp_eq_u32 s15, 1
	s_cselect_b64 s[22:23], -1, 0
	s_cmpk_eq_i32 s13, 0x6f
	v_mov_b32_e32 v1, s3
	s_cselect_b64 s[24:25], -1, 0
	s_cmpk_lg_i32 s13, 0x6f
	s_waitcnt vmcnt(0)
	v_subrev_co_u32_e32 v8, vcc, s18, v6
	s_cselect_b64 s[12:13], -1, 0
	s_cmp_lg_u32 s15, 1
	v_subb_co_u32_e32 v9, vcc, v7, v1, vcc
	s_cbranch_scc0 .LBB33_18
; %bb.15:
	s_andn2_b64 vcc, exec, s[12:13]
	v_pk_mov_b32 v[6:7], v[8:9], v[8:9] op_sel:[0,1]
	s_cbranch_vccnz .LBB33_17
; %bb.16:
	v_mul_lo_u32 v1, v9, s0
	v_mul_lo_u32 v11, v8, s1
	v_mad_u64_u32 v[6:7], s[12:13], v8, s0, 0
	v_add3_u32 v7, v7, v11, v1
.LBB33_17:
	s_cbranch_execz .LBB33_19
	s_branch .LBB33_22
.LBB33_18:
                                        ; implicit-def: $vgpr6_vgpr7
.LBB33_19:
	s_andn2_b64 vcc, exec, s[24:25]
	s_cbranch_vccnz .LBB33_21
; %bb.20:
	v_mul_lo_u32 v1, v9, s0
	v_mul_lo_u32 v6, v8, s1
	v_mad_u64_u32 v[8:9], s[12:13], v8, s0, 0
	v_add3_u32 v9, v9, v6, v1
.LBB33_21:
	v_pk_mov_b32 v[6:7], v[8:9], v[8:9] op_sel:[0,1]
.LBB33_22:
	s_load_dwordx2 s[12:13], s[4:5], 0x60
	v_and_b32_e32 v0, 1, v0
	v_mov_b32_e32 v1, 0
	v_cmp_gt_i64_e32 vcc, s[8:9], v[0:1]
	s_and_saveexec_b64 s[14:15], vcc
	s_cbranch_execz .LBB33_26
; %bb.23:
	s_load_dwordx2 s[18:19], s[4:5], 0x38
	s_load_dwordx2 s[26:27], s[4:5], 0x48
	s_xor_b64 s[4:5], s[20:21], s[10:11]
	s_and_b64 s[4:5], s[4:5], exec
	s_cselect_b32 s5, 0, s7
	s_cselect_b32 s4, 1, s6
	s_xor_b64 s[6:7], s[24:25], s[22:23]
	s_and_b64 s[6:7], s[6:7], exec
	s_cselect_b32 s1, s1, 0
	s_cselect_b32 s0, s0, 1
	v_mul_lo_u32 v9, s1, v0
	v_mul_lo_u32 v8, s0, v0
	v_lshlrev_b64 v[8:9], 2, v[8:9]
	v_lshlrev_b64 v[6:7], 2, v[6:7]
	v_add_co_u32_e32 v6, vcc, v8, v6
	v_addc_co_u32_e32 v7, vcc, v9, v7, vcc
	s_waitcnt lgkmcnt(0)
	v_mov_b32_e32 v8, s27
	v_add_co_u32_e32 v6, vcc, s26, v6
	v_addc_co_u32_e32 v7, vcc, v8, v7, vcc
	v_mul_lo_u32 v9, s5, v0
	v_mul_lo_u32 v8, s4, v0
	v_lshlrev_b64 v[8:9], 2, v[8:9]
	v_lshlrev_b64 v[4:5], 2, v[4:5]
	v_add_co_u32_e32 v4, vcc, v8, v4
	v_addc_co_u32_e32 v5, vcc, v9, v5, vcc
	s_lshl_b64 s[0:1], s[0:1], 3
	v_mov_b32_e32 v8, s19
	v_add_co_u32_e32 v4, vcc, s18, v4
	s_lshl_b64 s[6:7], s[4:5], 3
	v_mov_b32_e32 v13, 0
	v_addc_co_u32_e32 v5, vcc, v8, v5, vcc
	s_mov_b64 s[4:5], 0
	v_mov_b32_e32 v11, s1
	v_mov_b32_e32 v12, s7
	v_pk_mov_b32 v[8:9], v[0:1], v[0:1] op_sel:[0,1]
	v_mov_b32_e32 v1, v13
.LBB33_24:                              ; =>This Inner Loop Header: Depth=1
	global_load_dword v13, v[4:5], off
	global_load_dword v14, v[6:7], off
	v_add_co_u32_e32 v8, vcc, 2, v8
	v_addc_co_u32_e32 v9, vcc, 0, v9, vcc
	v_add_co_u32_e32 v6, vcc, s0, v6
	v_addc_co_u32_e32 v7, vcc, v7, v11, vcc
	;; [unrolled: 2-line block ×3, first 2 shown]
	v_cmp_le_i64_e32 vcc, s[8:9], v[8:9]
	s_or_b64 s[4:5], vcc, s[4:5]
	s_waitcnt vmcnt(0)
	v_fmac_f32_e32 v1, v13, v14
	s_andn2_b64 exec, exec, s[4:5]
	s_cbranch_execnz .LBB33_24
; %bb.25:
	s_or_b64 exec, exec, s[4:5]
.LBB33_26:
	s_or_b64 exec, exec, s[14:15]
	v_lshlrev_b32_e32 v4, 3, v10
	v_lshl_or_b32 v5, v0, 2, v4
	v_cmp_eq_u32_e32 vcc, 0, v0
	ds_write_b32 v5, v1
	s_waitcnt lgkmcnt(0)
	s_barrier
	s_and_saveexec_b64 s[0:1], vcc
	s_cbranch_execz .LBB33_28
; %bb.27:
	ds_read_b32 v0, v4 offset:4
	ds_read_b32 v1, v5
	s_waitcnt lgkmcnt(0)
	v_add_f32_e32 v0, v0, v1
	ds_write_b32 v5, v0
.LBB33_28:
	s_or_b64 exec, exec, s[0:1]
	s_waitcnt lgkmcnt(0)
	s_barrier
	s_and_b64 exec, exec, vcc
	s_cbranch_execz .LBB33_30
; %bb.29:
	v_lshlrev_b64 v[0:1], 2, v[2:3]
	v_mov_b32_e32 v2, s13
	v_add_co_u32_e32 v0, vcc, s12, v0
	v_addc_co_u32_e32 v1, vcc, v2, v1, vcc
	global_load_dword v2, v[0:1], off
	ds_read_b32 v3, v4
	s_waitcnt lgkmcnt(0)
	v_mul_f32_e32 v3, s16, v3
	s_waitcnt vmcnt(0)
	v_fmac_f32_e32 v3, s2, v2
	global_store_dword v[0:1], v3, off
.LBB33_30:
	s_endpgm
	.section	.rodata,"a",@progbits
	.p2align	6, 0x0
	.amdhsa_kernel _ZN9rocsparseL17sddmm_coox_kernelILi512ELi2ELb0EfllfffEEv20rocsparse_operation_S1_16rocsparse_order_S2_T4_S3_S3_T3_NS_24const_host_device_scalarIT2_EEPKT5_lPKT6_lS7_PT7_PKS4_SH_21rocsparse_index_base_b
		.amdhsa_group_segment_fixed_size 2048
		.amdhsa_private_segment_fixed_size 0
		.amdhsa_kernarg_size 128
		.amdhsa_user_sgpr_count 6
		.amdhsa_user_sgpr_private_segment_buffer 1
		.amdhsa_user_sgpr_dispatch_ptr 0
		.amdhsa_user_sgpr_queue_ptr 0
		.amdhsa_user_sgpr_kernarg_segment_ptr 1
		.amdhsa_user_sgpr_dispatch_id 0
		.amdhsa_user_sgpr_flat_scratch_init 0
		.amdhsa_user_sgpr_kernarg_preload_length 0
		.amdhsa_user_sgpr_kernarg_preload_offset 0
		.amdhsa_user_sgpr_private_segment_size 0
		.amdhsa_uses_dynamic_stack 0
		.amdhsa_system_sgpr_private_segment_wavefront_offset 0
		.amdhsa_system_sgpr_workgroup_id_x 1
		.amdhsa_system_sgpr_workgroup_id_y 0
		.amdhsa_system_sgpr_workgroup_id_z 0
		.amdhsa_system_sgpr_workgroup_info 0
		.amdhsa_system_vgpr_workitem_id 0
		.amdhsa_next_free_vgpr 15
		.amdhsa_next_free_sgpr 28
		.amdhsa_accum_offset 16
		.amdhsa_reserve_vcc 1
		.amdhsa_reserve_flat_scratch 0
		.amdhsa_float_round_mode_32 0
		.amdhsa_float_round_mode_16_64 0
		.amdhsa_float_denorm_mode_32 3
		.amdhsa_float_denorm_mode_16_64 3
		.amdhsa_dx10_clamp 1
		.amdhsa_ieee_mode 1
		.amdhsa_fp16_overflow 0
		.amdhsa_tg_split 0
		.amdhsa_exception_fp_ieee_invalid_op 0
		.amdhsa_exception_fp_denorm_src 0
		.amdhsa_exception_fp_ieee_div_zero 0
		.amdhsa_exception_fp_ieee_overflow 0
		.amdhsa_exception_fp_ieee_underflow 0
		.amdhsa_exception_fp_ieee_inexact 0
		.amdhsa_exception_int_div_zero 0
	.end_amdhsa_kernel
	.section	.text._ZN9rocsparseL17sddmm_coox_kernelILi512ELi2ELb0EfllfffEEv20rocsparse_operation_S1_16rocsparse_order_S2_T4_S3_S3_T3_NS_24const_host_device_scalarIT2_EEPKT5_lPKT6_lS7_PT7_PKS4_SH_21rocsparse_index_base_b,"axG",@progbits,_ZN9rocsparseL17sddmm_coox_kernelILi512ELi2ELb0EfllfffEEv20rocsparse_operation_S1_16rocsparse_order_S2_T4_S3_S3_T3_NS_24const_host_device_scalarIT2_EEPKT5_lPKT6_lS7_PT7_PKS4_SH_21rocsparse_index_base_b,comdat
.Lfunc_end33:
	.size	_ZN9rocsparseL17sddmm_coox_kernelILi512ELi2ELb0EfllfffEEv20rocsparse_operation_S1_16rocsparse_order_S2_T4_S3_S3_T3_NS_24const_host_device_scalarIT2_EEPKT5_lPKT6_lS7_PT7_PKS4_SH_21rocsparse_index_base_b, .Lfunc_end33-_ZN9rocsparseL17sddmm_coox_kernelILi512ELi2ELb0EfllfffEEv20rocsparse_operation_S1_16rocsparse_order_S2_T4_S3_S3_T3_NS_24const_host_device_scalarIT2_EEPKT5_lPKT6_lS7_PT7_PKS4_SH_21rocsparse_index_base_b
                                        ; -- End function
	.section	.AMDGPU.csdata,"",@progbits
; Kernel info:
; codeLenInByte = 976
; NumSgprs: 32
; NumVgprs: 15
; NumAgprs: 0
; TotalNumVgprs: 15
; ScratchSize: 0
; MemoryBound: 0
; FloatMode: 240
; IeeeMode: 1
; LDSByteSize: 2048 bytes/workgroup (compile time only)
; SGPRBlocks: 3
; VGPRBlocks: 1
; NumSGPRsForWavesPerEU: 32
; NumVGPRsForWavesPerEU: 15
; AccumOffset: 16
; Occupancy: 8
; WaveLimiterHint : 0
; COMPUTE_PGM_RSRC2:SCRATCH_EN: 0
; COMPUTE_PGM_RSRC2:USER_SGPR: 6
; COMPUTE_PGM_RSRC2:TRAP_HANDLER: 0
; COMPUTE_PGM_RSRC2:TGID_X_EN: 1
; COMPUTE_PGM_RSRC2:TGID_Y_EN: 0
; COMPUTE_PGM_RSRC2:TGID_Z_EN: 0
; COMPUTE_PGM_RSRC2:TIDIG_COMP_CNT: 0
; COMPUTE_PGM_RSRC3_GFX90A:ACCUM_OFFSET: 3
; COMPUTE_PGM_RSRC3_GFX90A:TG_SPLIT: 0
	.section	.text._ZN9rocsparseL17sddmm_coox_kernelILi512ELi1ELb0EfllfffEEv20rocsparse_operation_S1_16rocsparse_order_S2_T4_S3_S3_T3_NS_24const_host_device_scalarIT2_EEPKT5_lPKT6_lS7_PT7_PKS4_SH_21rocsparse_index_base_b,"axG",@progbits,_ZN9rocsparseL17sddmm_coox_kernelILi512ELi1ELb0EfllfffEEv20rocsparse_operation_S1_16rocsparse_order_S2_T4_S3_S3_T3_NS_24const_host_device_scalarIT2_EEPKT5_lPKT6_lS7_PT7_PKS4_SH_21rocsparse_index_base_b,comdat
	.globl	_ZN9rocsparseL17sddmm_coox_kernelILi512ELi1ELb0EfllfffEEv20rocsparse_operation_S1_16rocsparse_order_S2_T4_S3_S3_T3_NS_24const_host_device_scalarIT2_EEPKT5_lPKT6_lS7_PT7_PKS4_SH_21rocsparse_index_base_b ; -- Begin function _ZN9rocsparseL17sddmm_coox_kernelILi512ELi1ELb0EfllfffEEv20rocsparse_operation_S1_16rocsparse_order_S2_T4_S3_S3_T3_NS_24const_host_device_scalarIT2_EEPKT5_lPKT6_lS7_PT7_PKS4_SH_21rocsparse_index_base_b
	.p2align	8
	.type	_ZN9rocsparseL17sddmm_coox_kernelILi512ELi1ELb0EfllfffEEv20rocsparse_operation_S1_16rocsparse_order_S2_T4_S3_S3_T3_NS_24const_host_device_scalarIT2_EEPKT5_lPKT6_lS7_PT7_PKS4_SH_21rocsparse_index_base_b,@function
_ZN9rocsparseL17sddmm_coox_kernelILi512ELi1ELb0EfllfffEEv20rocsparse_operation_S1_16rocsparse_order_S2_T4_S3_S3_T3_NS_24const_host_device_scalarIT2_EEPKT5_lPKT6_lS7_PT7_PKS4_SH_21rocsparse_index_base_b: ; @_ZN9rocsparseL17sddmm_coox_kernelILi512ELi1ELb0EfllfffEEv20rocsparse_operation_S1_16rocsparse_order_S2_T4_S3_S3_T3_NS_24const_host_device_scalarIT2_EEPKT5_lPKT6_lS7_PT7_PKS4_SH_21rocsparse_index_base_b
; %bb.0:
	s_load_dwordx2 s[18:19], s[4:5], 0x78
	s_load_dwordx2 s[16:17], s[4:5], 0x30
	s_load_dwordx4 s[0:3], s[4:5], 0x50
	s_waitcnt lgkmcnt(0)
	s_bitcmp1_b32 s19, 0
	s_cselect_b64 s[10:11], -1, 0
	s_xor_b64 s[8:9], s[10:11], -1
	s_and_b64 vcc, exec, s[10:11]
	s_cbranch_vccnz .LBB34_2
; %bb.1:
	s_load_dword s16, s[16:17], 0x0
.LBB34_2:
	s_andn2_b64 vcc, exec, s[8:9]
	s_cbranch_vccnz .LBB34_4
; %bb.3:
	s_load_dword s2, s[2:3], 0x0
.LBB34_4:
	s_waitcnt lgkmcnt(0)
	v_cmp_eq_f32_e64 s[8:9], s16, 0
	v_cmp_eq_f32_e64 s[10:11], s2, 1.0
	s_and_b64 s[8:9], s[8:9], s[10:11]
	s_and_b64 vcc, exec, s[8:9]
	s_cbranch_vccnz .LBB34_27
; %bb.5:
	s_load_dwordx4 s[8:11], s[4:5], 0x20
	v_lshl_or_b32 v2, s6, 9, v0
	v_mov_b32_e32 v3, 0
	s_waitcnt lgkmcnt(0)
	v_cmp_gt_i64_e32 vcc, s[10:11], v[2:3]
	s_and_saveexec_b64 s[6:7], vcc
	s_cbranch_execz .LBB34_27
; %bb.6:
	s_load_dwordx4 s[12:15], s[4:5], 0x68
	v_lshlrev_b64 v[4:5], 3, v[2:3]
	s_mov_b32 s3, 0
	s_waitcnt lgkmcnt(0)
	v_mov_b32_e32 v1, s13
	v_add_co_u32_e32 v6, vcc, s12, v4
	v_addc_co_u32_e32 v7, vcc, v1, v5, vcc
	global_load_dwordx2 v[8:9], v[6:7], off
	v_mov_b32_e32 v1, s15
	v_add_co_u32_e32 v4, vcc, s14, v4
	v_addc_co_u32_e32 v5, vcc, v1, v5, vcc
	global_load_dwordx2 v[6:7], v[4:5], off
	s_load_dwordx4 s[12:15], s[4:5], 0x0
	s_load_dwordx2 s[6:7], s[4:5], 0x40
	s_waitcnt lgkmcnt(0)
	s_cmp_eq_u32 s14, 1
	s_cselect_b64 s[10:11], -1, 0
	s_cmpk_eq_i32 s12, 0x6f
	s_cselect_b64 s[20:21], -1, 0
	s_cmpk_lg_i32 s12, 0x6f
	s_cselect_b64 s[22:23], -1, 0
	s_cmp_lg_u32 s14, 1
	s_waitcnt vmcnt(1)
	v_subrev_co_u32_e32 v8, vcc, s18, v8
	v_subbrev_co_u32_e32 v9, vcc, 0, v9, vcc
	s_cbranch_scc0 .LBB34_10
; %bb.7:
	s_andn2_b64 vcc, exec, s[20:21]
	v_pk_mov_b32 v[4:5], v[8:9], v[8:9] op_sel:[0,1]
	s_cbranch_vccnz .LBB34_9
; %bb.8:
	v_mul_lo_u32 v1, v9, s6
	v_mul_lo_u32 v10, v8, s7
	v_mad_u64_u32 v[4:5], s[24:25], v8, s6, 0
	v_add3_u32 v5, v5, v10, v1
.LBB34_9:
	s_cbranch_execz .LBB34_11
	s_branch .LBB34_14
.LBB34_10:
                                        ; implicit-def: $vgpr4_vgpr5
.LBB34_11:
	s_andn2_b64 vcc, exec, s[22:23]
	s_cbranch_vccnz .LBB34_13
; %bb.12:
	v_mul_lo_u32 v1, v9, s6
	v_mul_lo_u32 v4, v8, s7
	v_mad_u64_u32 v[8:9], s[22:23], v8, s6, 0
	v_add3_u32 v9, v9, v4, v1
.LBB34_13:
	v_pk_mov_b32 v[4:5], v[8:9], v[8:9] op_sel:[0,1]
.LBB34_14:
	s_cmp_eq_u32 s15, 1
	s_cselect_b64 s[22:23], -1, 0
	s_cmpk_eq_i32 s13, 0x6f
	v_mov_b32_e32 v1, s3
	s_cselect_b64 s[24:25], -1, 0
	s_cmpk_lg_i32 s13, 0x6f
	s_waitcnt vmcnt(0)
	v_subrev_co_u32_e32 v6, vcc, s18, v6
	s_cselect_b64 s[12:13], -1, 0
	s_cmp_lg_u32 s15, 1
	v_subb_co_u32_e32 v7, vcc, v7, v1, vcc
	s_cbranch_scc0 .LBB34_21
; %bb.15:
	s_andn2_b64 vcc, exec, s[12:13]
	v_pk_mov_b32 v[8:9], v[6:7], v[6:7] op_sel:[0,1]
	s_cbranch_vccnz .LBB34_17
; %bb.16:
	v_mul_lo_u32 v1, v7, s0
	v_mul_lo_u32 v10, v6, s1
	v_mad_u64_u32 v[8:9], s[12:13], v6, s0, 0
	v_add3_u32 v9, v9, v10, v1
.LBB34_17:
	s_cbranch_execz .LBB34_22
; %bb.18:
	s_load_dwordx2 s[12:13], s[4:5], 0x60
	v_cmp_lt_i64_e64 s[14:15], s[8:9], 1
	s_and_b64 vcc, exec, s[14:15]
	s_cbranch_vccnz .LBB34_25
.LBB34_19:
	s_load_dwordx2 s[14:15], s[4:5], 0x48
	s_load_dwordx2 s[18:19], s[4:5], 0x38
	s_xor_b64 s[4:5], s[20:21], s[10:11]
	s_and_b64 s[4:5], s[4:5], exec
	v_lshlrev_b64 v[6:7], 2, v[8:9]
	s_cselect_b32 s5, 0, s7
	s_cselect_b32 s4, 1, s6
	s_xor_b64 s[6:7], s[24:25], s[22:23]
	s_waitcnt lgkmcnt(0)
	v_mov_b32_e32 v1, s15
	v_add_co_u32_e32 v6, vcc, s14, v6
	s_and_b64 s[6:7], s[6:7], exec
	v_addc_co_u32_e32 v7, vcc, v1, v7, vcc
	v_lshlrev_b64 v[4:5], 2, v[4:5]
	s_cselect_b32 s1, s1, 0
	s_cselect_b32 s0, s0, 1
	v_mov_b32_e32 v1, s19
	v_add_co_u32_e32 v4, vcc, s18, v4
	s_lshl_b64 s[0:1], s[0:1], 2
	s_lshl_b64 s[4:5], s[4:5], 2
	v_addc_co_u32_e32 v5, vcc, v1, v5, vcc
	v_mov_b32_e32 v1, 0
	v_mov_b32_e32 v8, s1
	;; [unrolled: 1-line block ×3, first 2 shown]
.LBB34_20:                              ; =>This Inner Loop Header: Depth=1
	global_load_dword v10, v[4:5], off
	global_load_dword v11, v[6:7], off
	v_add_co_u32_e32 v6, vcc, s0, v6
	s_add_u32 s8, s8, -1
	v_addc_co_u32_e32 v7, vcc, v7, v8, vcc
	v_add_co_u32_e32 v4, vcc, s4, v4
	s_addc_u32 s9, s9, -1
	v_addc_co_u32_e32 v5, vcc, v5, v9, vcc
	s_cmp_eq_u64 s[8:9], 0
	s_waitcnt vmcnt(0)
	v_fmac_f32_e32 v1, v10, v11
	s_cbranch_scc0 .LBB34_20
	s_branch .LBB34_26
.LBB34_21:
                                        ; implicit-def: $vgpr8_vgpr9
.LBB34_22:
	s_andn2_b64 vcc, exec, s[24:25]
	s_cbranch_vccnz .LBB34_24
; %bb.23:
	v_mul_lo_u32 v1, v7, s0
	v_mul_lo_u32 v8, v6, s1
	v_mad_u64_u32 v[6:7], s[12:13], v6, s0, 0
	v_add3_u32 v7, v7, v8, v1
.LBB34_24:
	v_pk_mov_b32 v[8:9], v[6:7], v[6:7] op_sel:[0,1]
	s_load_dwordx2 s[12:13], s[4:5], 0x60
	v_cmp_lt_i64_e64 s[14:15], s[8:9], 1
	s_and_b64 vcc, exec, s[14:15]
	s_cbranch_vccz .LBB34_19
.LBB34_25:
	v_mov_b32_e32 v1, 0
.LBB34_26:
	v_lshlrev_b32_e32 v4, 2, v0
	ds_write_b32 v4, v1
	v_lshlrev_b64 v[0:1], 2, v[2:3]
	s_waitcnt lgkmcnt(0)
	v_mov_b32_e32 v2, s13
	v_add_co_u32_e32 v0, vcc, s12, v0
	v_addc_co_u32_e32 v1, vcc, v2, v1, vcc
	s_barrier
	global_load_dword v2, v[0:1], off
	ds_read_b32 v3, v4
	s_waitcnt lgkmcnt(0)
	v_mul_f32_e32 v3, s16, v3
	s_waitcnt vmcnt(0)
	v_fmac_f32_e32 v3, s2, v2
	global_store_dword v[0:1], v3, off
.LBB34_27:
	s_endpgm
	.section	.rodata,"a",@progbits
	.p2align	6, 0x0
	.amdhsa_kernel _ZN9rocsparseL17sddmm_coox_kernelILi512ELi1ELb0EfllfffEEv20rocsparse_operation_S1_16rocsparse_order_S2_T4_S3_S3_T3_NS_24const_host_device_scalarIT2_EEPKT5_lPKT6_lS7_PT7_PKS4_SH_21rocsparse_index_base_b
		.amdhsa_group_segment_fixed_size 2048
		.amdhsa_private_segment_fixed_size 0
		.amdhsa_kernarg_size 128
		.amdhsa_user_sgpr_count 6
		.amdhsa_user_sgpr_private_segment_buffer 1
		.amdhsa_user_sgpr_dispatch_ptr 0
		.amdhsa_user_sgpr_queue_ptr 0
		.amdhsa_user_sgpr_kernarg_segment_ptr 1
		.amdhsa_user_sgpr_dispatch_id 0
		.amdhsa_user_sgpr_flat_scratch_init 0
		.amdhsa_user_sgpr_kernarg_preload_length 0
		.amdhsa_user_sgpr_kernarg_preload_offset 0
		.amdhsa_user_sgpr_private_segment_size 0
		.amdhsa_uses_dynamic_stack 0
		.amdhsa_system_sgpr_private_segment_wavefront_offset 0
		.amdhsa_system_sgpr_workgroup_id_x 1
		.amdhsa_system_sgpr_workgroup_id_y 0
		.amdhsa_system_sgpr_workgroup_id_z 0
		.amdhsa_system_sgpr_workgroup_info 0
		.amdhsa_system_vgpr_workitem_id 0
		.amdhsa_next_free_vgpr 12
		.amdhsa_next_free_sgpr 26
		.amdhsa_accum_offset 12
		.amdhsa_reserve_vcc 1
		.amdhsa_reserve_flat_scratch 0
		.amdhsa_float_round_mode_32 0
		.amdhsa_float_round_mode_16_64 0
		.amdhsa_float_denorm_mode_32 3
		.amdhsa_float_denorm_mode_16_64 3
		.amdhsa_dx10_clamp 1
		.amdhsa_ieee_mode 1
		.amdhsa_fp16_overflow 0
		.amdhsa_tg_split 0
		.amdhsa_exception_fp_ieee_invalid_op 0
		.amdhsa_exception_fp_denorm_src 0
		.amdhsa_exception_fp_ieee_div_zero 0
		.amdhsa_exception_fp_ieee_overflow 0
		.amdhsa_exception_fp_ieee_underflow 0
		.amdhsa_exception_fp_ieee_inexact 0
		.amdhsa_exception_int_div_zero 0
	.end_amdhsa_kernel
	.section	.text._ZN9rocsparseL17sddmm_coox_kernelILi512ELi1ELb0EfllfffEEv20rocsparse_operation_S1_16rocsparse_order_S2_T4_S3_S3_T3_NS_24const_host_device_scalarIT2_EEPKT5_lPKT6_lS7_PT7_PKS4_SH_21rocsparse_index_base_b,"axG",@progbits,_ZN9rocsparseL17sddmm_coox_kernelILi512ELi1ELb0EfllfffEEv20rocsparse_operation_S1_16rocsparse_order_S2_T4_S3_S3_T3_NS_24const_host_device_scalarIT2_EEPKT5_lPKT6_lS7_PT7_PKS4_SH_21rocsparse_index_base_b,comdat
.Lfunc_end34:
	.size	_ZN9rocsparseL17sddmm_coox_kernelILi512ELi1ELb0EfllfffEEv20rocsparse_operation_S1_16rocsparse_order_S2_T4_S3_S3_T3_NS_24const_host_device_scalarIT2_EEPKT5_lPKT6_lS7_PT7_PKS4_SH_21rocsparse_index_base_b, .Lfunc_end34-_ZN9rocsparseL17sddmm_coox_kernelILi512ELi1ELb0EfllfffEEv20rocsparse_operation_S1_16rocsparse_order_S2_T4_S3_S3_T3_NS_24const_host_device_scalarIT2_EEPKT5_lPKT6_lS7_PT7_PKS4_SH_21rocsparse_index_base_b
                                        ; -- End function
	.section	.AMDGPU.csdata,"",@progbits
; Kernel info:
; codeLenInByte = 828
; NumSgprs: 30
; NumVgprs: 12
; NumAgprs: 0
; TotalNumVgprs: 12
; ScratchSize: 0
; MemoryBound: 0
; FloatMode: 240
; IeeeMode: 1
; LDSByteSize: 2048 bytes/workgroup (compile time only)
; SGPRBlocks: 3
; VGPRBlocks: 1
; NumSGPRsForWavesPerEU: 30
; NumVGPRsForWavesPerEU: 12
; AccumOffset: 12
; Occupancy: 8
; WaveLimiterHint : 0
; COMPUTE_PGM_RSRC2:SCRATCH_EN: 0
; COMPUTE_PGM_RSRC2:USER_SGPR: 6
; COMPUTE_PGM_RSRC2:TRAP_HANDLER: 0
; COMPUTE_PGM_RSRC2:TGID_X_EN: 1
; COMPUTE_PGM_RSRC2:TGID_Y_EN: 0
; COMPUTE_PGM_RSRC2:TGID_Z_EN: 0
; COMPUTE_PGM_RSRC2:TIDIG_COMP_CNT: 0
; COMPUTE_PGM_RSRC3_GFX90A:ACCUM_OFFSET: 2
; COMPUTE_PGM_RSRC3_GFX90A:TG_SPLIT: 0
	.section	.text._ZN9rocsparseL24sddmm_coox_sample_kernelILi512ELb0EdlldEEvT3_S1_T2_PKT4_S1_PS3_PKS2_S8_21rocsparse_index_base_,"axG",@progbits,_ZN9rocsparseL24sddmm_coox_sample_kernelILi512ELb0EdlldEEvT3_S1_T2_PKT4_S1_PS3_PKS2_S8_21rocsparse_index_base_,comdat
	.globl	_ZN9rocsparseL24sddmm_coox_sample_kernelILi512ELb0EdlldEEvT3_S1_T2_PKT4_S1_PS3_PKS2_S8_21rocsparse_index_base_ ; -- Begin function _ZN9rocsparseL24sddmm_coox_sample_kernelILi512ELb0EdlldEEvT3_S1_T2_PKT4_S1_PS3_PKS2_S8_21rocsparse_index_base_
	.p2align	8
	.type	_ZN9rocsparseL24sddmm_coox_sample_kernelILi512ELb0EdlldEEvT3_S1_T2_PKT4_S1_PS3_PKS2_S8_21rocsparse_index_base_,@function
_ZN9rocsparseL24sddmm_coox_sample_kernelILi512ELb0EdlldEEvT3_S1_T2_PKT4_S1_PS3_PKS2_S8_21rocsparse_index_base_: ; @_ZN9rocsparseL24sddmm_coox_sample_kernelILi512ELb0EdlldEEvT3_S1_T2_PKT4_S1_PS3_PKS2_S8_21rocsparse_index_base_
; %bb.0:
	s_load_dwordx2 s[2:3], s[4:5], 0x10
	v_lshl_or_b32 v0, s6, 9, v0
	v_mov_b32_e32 v1, 0
	s_waitcnt lgkmcnt(0)
	v_cmp_gt_i64_e32 vcc, s[2:3], v[0:1]
	s_and_saveexec_b64 s[0:1], vcc
	s_cbranch_execz .LBB35_3
; %bb.1:
	s_load_dword s0, s[4:5], 0x48
	s_load_dwordx2 s[6:7], s[4:5], 0x38
	s_load_dword s16, s[4:5], 0x40
	s_load_dwordx8 s[8:15], s[4:5], 0x18
	s_mov_b32 s1, 0
	s_waitcnt lgkmcnt(0)
	s_lshl_b32 s17, s0, 9
	v_pk_mov_b32 v[2:3], v[0:1], v[0:1] op_sel:[0,1]
	v_add_u32_e32 v0, s17, v0
	s_mov_b64 s[4:5], 0
	v_mov_b32_e32 v4, s15
	v_mov_b32_e32 v5, s1
	;; [unrolled: 1-line block ×5, first 2 shown]
.LBB35_2:                               ; =>This Inner Loop Header: Depth=1
	v_lshlrev_b64 v[10:11], 3, v[2:3]
	v_add_co_u32_e32 v2, vcc, s14, v10
	v_addc_co_u32_e32 v3, vcc, v4, v11, vcc
	v_add_co_u32_e32 v12, vcc, s6, v10
	v_addc_co_u32_e32 v13, vcc, v6, v11, vcc
	global_load_dwordx2 v[14:15], v[12:13], off
	global_load_dwordx2 v[16:17], v[2:3], off
	s_waitcnt vmcnt(0)
	v_subrev_co_u32_e32 v2, vcc, s16, v16
	v_subb_co_u32_e32 v3, vcc, v17, v5, vcc
	v_subrev_co_u32_e32 v9, vcc, s16, v14
	v_subb_co_u32_e32 v12, vcc, v15, v5, vcc
	v_mul_lo_u32 v14, v12, s10
	v_mul_lo_u32 v15, v9, s11
	v_mad_u64_u32 v[12:13], s[0:1], v9, s10, 0
	v_add3_u32 v13, v13, v15, v14
	v_lshlrev_b64 v[12:13], 3, v[12:13]
	v_add_co_u32_e32 v9, vcc, s8, v12
	v_lshlrev_b64 v[2:3], 3, v[2:3]
	v_addc_co_u32_e32 v12, vcc, v7, v13, vcc
	v_add_co_u32_e32 v2, vcc, v9, v2
	v_addc_co_u32_e32 v3, vcc, v12, v3, vcc
	global_load_dwordx2 v[12:13], v[2:3], off
	v_cmp_le_u64_e32 vcc, s[2:3], v[0:1]
	v_add_co_u32_e64 v10, s[0:1], s12, v10
	v_pk_mov_b32 v[2:3], v[0:1], v[0:1] op_sel:[0,1]
	v_add_u32_e32 v0, s17, v0
	v_addc_co_u32_e64 v11, s[0:1], v8, v11, s[0:1]
	s_or_b64 s[4:5], vcc, s[4:5]
	s_waitcnt vmcnt(0)
	global_store_dwordx2 v[10:11], v[12:13], off
	s_andn2_b64 exec, exec, s[4:5]
	s_cbranch_execnz .LBB35_2
.LBB35_3:
	s_endpgm
	.section	.rodata,"a",@progbits
	.p2align	6, 0x0
	.amdhsa_kernel _ZN9rocsparseL24sddmm_coox_sample_kernelILi512ELb0EdlldEEvT3_S1_T2_PKT4_S1_PS3_PKS2_S8_21rocsparse_index_base_
		.amdhsa_group_segment_fixed_size 0
		.amdhsa_private_segment_fixed_size 0
		.amdhsa_kernarg_size 328
		.amdhsa_user_sgpr_count 6
		.amdhsa_user_sgpr_private_segment_buffer 1
		.amdhsa_user_sgpr_dispatch_ptr 0
		.amdhsa_user_sgpr_queue_ptr 0
		.amdhsa_user_sgpr_kernarg_segment_ptr 1
		.amdhsa_user_sgpr_dispatch_id 0
		.amdhsa_user_sgpr_flat_scratch_init 0
		.amdhsa_user_sgpr_kernarg_preload_length 0
		.amdhsa_user_sgpr_kernarg_preload_offset 0
		.amdhsa_user_sgpr_private_segment_size 0
		.amdhsa_uses_dynamic_stack 0
		.amdhsa_system_sgpr_private_segment_wavefront_offset 0
		.amdhsa_system_sgpr_workgroup_id_x 1
		.amdhsa_system_sgpr_workgroup_id_y 0
		.amdhsa_system_sgpr_workgroup_id_z 0
		.amdhsa_system_sgpr_workgroup_info 0
		.amdhsa_system_vgpr_workitem_id 0
		.amdhsa_next_free_vgpr 18
		.amdhsa_next_free_sgpr 18
		.amdhsa_accum_offset 20
		.amdhsa_reserve_vcc 1
		.amdhsa_reserve_flat_scratch 0
		.amdhsa_float_round_mode_32 0
		.amdhsa_float_round_mode_16_64 0
		.amdhsa_float_denorm_mode_32 3
		.amdhsa_float_denorm_mode_16_64 3
		.amdhsa_dx10_clamp 1
		.amdhsa_ieee_mode 1
		.amdhsa_fp16_overflow 0
		.amdhsa_tg_split 0
		.amdhsa_exception_fp_ieee_invalid_op 0
		.amdhsa_exception_fp_denorm_src 0
		.amdhsa_exception_fp_ieee_div_zero 0
		.amdhsa_exception_fp_ieee_overflow 0
		.amdhsa_exception_fp_ieee_underflow 0
		.amdhsa_exception_fp_ieee_inexact 0
		.amdhsa_exception_int_div_zero 0
	.end_amdhsa_kernel
	.section	.text._ZN9rocsparseL24sddmm_coox_sample_kernelILi512ELb0EdlldEEvT3_S1_T2_PKT4_S1_PS3_PKS2_S8_21rocsparse_index_base_,"axG",@progbits,_ZN9rocsparseL24sddmm_coox_sample_kernelILi512ELb0EdlldEEvT3_S1_T2_PKT4_S1_PS3_PKS2_S8_21rocsparse_index_base_,comdat
.Lfunc_end35:
	.size	_ZN9rocsparseL24sddmm_coox_sample_kernelILi512ELb0EdlldEEvT3_S1_T2_PKT4_S1_PS3_PKS2_S8_21rocsparse_index_base_, .Lfunc_end35-_ZN9rocsparseL24sddmm_coox_sample_kernelILi512ELb0EdlldEEvT3_S1_T2_PKT4_S1_PS3_PKS2_S8_21rocsparse_index_base_
                                        ; -- End function
	.section	.AMDGPU.csdata,"",@progbits
; Kernel info:
; codeLenInByte = 308
; NumSgprs: 22
; NumVgprs: 18
; NumAgprs: 0
; TotalNumVgprs: 18
; ScratchSize: 0
; MemoryBound: 0
; FloatMode: 240
; IeeeMode: 1
; LDSByteSize: 0 bytes/workgroup (compile time only)
; SGPRBlocks: 2
; VGPRBlocks: 2
; NumSGPRsForWavesPerEU: 22
; NumVGPRsForWavesPerEU: 18
; AccumOffset: 20
; Occupancy: 8
; WaveLimiterHint : 1
; COMPUTE_PGM_RSRC2:SCRATCH_EN: 0
; COMPUTE_PGM_RSRC2:USER_SGPR: 6
; COMPUTE_PGM_RSRC2:TRAP_HANDLER: 0
; COMPUTE_PGM_RSRC2:TGID_X_EN: 1
; COMPUTE_PGM_RSRC2:TGID_Y_EN: 0
; COMPUTE_PGM_RSRC2:TGID_Z_EN: 0
; COMPUTE_PGM_RSRC2:TIDIG_COMP_CNT: 0
; COMPUTE_PGM_RSRC3_GFX90A:ACCUM_OFFSET: 4
; COMPUTE_PGM_RSRC3_GFX90A:TG_SPLIT: 0
	.section	.text._ZN9rocsparseL17sddmm_coox_kernelILi512ELi8ELb0EdlldddEEv20rocsparse_operation_S1_16rocsparse_order_S2_T4_S3_S3_T3_NS_24const_host_device_scalarIT2_EEPKT5_lPKT6_lS7_PT7_PKS4_SH_21rocsparse_index_base_b,"axG",@progbits,_ZN9rocsparseL17sddmm_coox_kernelILi512ELi8ELb0EdlldddEEv20rocsparse_operation_S1_16rocsparse_order_S2_T4_S3_S3_T3_NS_24const_host_device_scalarIT2_EEPKT5_lPKT6_lS7_PT7_PKS4_SH_21rocsparse_index_base_b,comdat
	.globl	_ZN9rocsparseL17sddmm_coox_kernelILi512ELi8ELb0EdlldddEEv20rocsparse_operation_S1_16rocsparse_order_S2_T4_S3_S3_T3_NS_24const_host_device_scalarIT2_EEPKT5_lPKT6_lS7_PT7_PKS4_SH_21rocsparse_index_base_b ; -- Begin function _ZN9rocsparseL17sddmm_coox_kernelILi512ELi8ELb0EdlldddEEv20rocsparse_operation_S1_16rocsparse_order_S2_T4_S3_S3_T3_NS_24const_host_device_scalarIT2_EEPKT5_lPKT6_lS7_PT7_PKS4_SH_21rocsparse_index_base_b
	.p2align	8
	.type	_ZN9rocsparseL17sddmm_coox_kernelILi512ELi8ELb0EdlldddEEv20rocsparse_operation_S1_16rocsparse_order_S2_T4_S3_S3_T3_NS_24const_host_device_scalarIT2_EEPKT5_lPKT6_lS7_PT7_PKS4_SH_21rocsparse_index_base_b,@function
_ZN9rocsparseL17sddmm_coox_kernelILi512ELi8ELb0EdlldddEEv20rocsparse_operation_S1_16rocsparse_order_S2_T4_S3_S3_T3_NS_24const_host_device_scalarIT2_EEPKT5_lPKT6_lS7_PT7_PKS4_SH_21rocsparse_index_base_b: ; @_ZN9rocsparseL17sddmm_coox_kernelILi512ELi8ELb0EdlldddEEv20rocsparse_operation_S1_16rocsparse_order_S2_T4_S3_S3_T3_NS_24const_host_device_scalarIT2_EEPKT5_lPKT6_lS7_PT7_PKS4_SH_21rocsparse_index_base_b
; %bb.0:
	s_load_dwordx2 s[16:17], s[4:5], 0x78
	s_load_dwordx2 s[2:3], s[4:5], 0x30
	s_load_dwordx4 s[8:11], s[4:5], 0x50
	s_waitcnt lgkmcnt(0)
	s_bitcmp1_b32 s17, 0
	s_cselect_b64 s[12:13], -1, 0
	s_xor_b64 s[0:1], s[12:13], -1
	s_and_b64 vcc, exec, s[12:13]
	v_pk_mov_b32 v[2:3], s[2:3], s[2:3] op_sel:[0,1]
	s_cbranch_vccnz .LBB36_2
; %bb.1:
	v_pk_mov_b32 v[2:3], s[2:3], s[2:3] op_sel:[0,1]
	flat_load_dwordx2 v[2:3], v[2:3]
.LBB36_2:
	s_andn2_b64 vcc, exec, s[0:1]
	v_pk_mov_b32 v[4:5], s[10:11], s[10:11] op_sel:[0,1]
	s_cbranch_vccnz .LBB36_4
; %bb.3:
	v_pk_mov_b32 v[4:5], s[10:11], s[10:11] op_sel:[0,1]
	flat_load_dwordx2 v[4:5], v[4:5]
.LBB36_4:
	s_waitcnt vmcnt(0) lgkmcnt(0)
	v_cmp_neq_f64_e32 vcc, 0, v[2:3]
	v_cmp_neq_f64_e64 s[0:1], 1.0, v[4:5]
	s_or_b64 s[0:1], vcc, s[0:1]
	s_and_saveexec_b64 s[2:3], s[0:1]
	s_cbranch_execz .LBB36_34
; %bb.5:
	s_load_dwordx4 s[0:3], s[4:5], 0x20
	v_lshrrev_b32_e32 v16, 3, v0
	v_lshl_or_b32 v6, s6, 6, v16
	v_mov_b32_e32 v7, 0
	s_waitcnt lgkmcnt(0)
	v_cmp_gt_i64_e32 vcc, s[2:3], v[6:7]
	s_and_b64 exec, exec, vcc
	s_cbranch_execz .LBB36_34
; %bb.6:
	s_load_dwordx4 s[12:15], s[4:5], 0x68
	v_lshlrev_b64 v[6:7], 3, v[6:7]
	s_mov_b32 s17, 0
	s_waitcnt lgkmcnt(0)
	v_mov_b32_e32 v1, s13
	v_add_co_u32_e32 v8, vcc, s12, v6
	v_addc_co_u32_e32 v9, vcc, v1, v7, vcc
	global_load_dwordx2 v[8:9], v[8:9], off
	v_mov_b32_e32 v1, s15
	v_add_co_u32_e32 v10, vcc, s14, v6
	v_addc_co_u32_e32 v11, vcc, v1, v7, vcc
	global_load_dwordx2 v[10:11], v[10:11], off
	s_load_dwordx4 s[12:15], s[4:5], 0x0
	s_load_dwordx2 s[6:7], s[4:5], 0x40
	s_waitcnt lgkmcnt(0)
	s_cmp_eq_u32 s14, 1
	s_cselect_b64 s[10:11], -1, 0
	s_cmpk_eq_i32 s12, 0x6f
	s_cselect_b64 s[18:19], -1, 0
	s_cmpk_lg_i32 s12, 0x6f
	s_cselect_b64 s[2:3], -1, 0
	s_cmp_lg_u32 s14, 1
	s_waitcnt vmcnt(1)
	v_subrev_co_u32_e32 v12, vcc, s16, v8
	v_subbrev_co_u32_e32 v13, vcc, 0, v9, vcc
	s_cbranch_scc0 .LBB36_10
; %bb.7:
	s_andn2_b64 vcc, exec, s[18:19]
	v_pk_mov_b32 v[8:9], v[12:13], v[12:13] op_sel:[0,1]
	s_cbranch_vccnz .LBB36_9
; %bb.8:
	v_mul_lo_u32 v1, v13, s6
	v_mul_lo_u32 v14, v12, s7
	v_mad_u64_u32 v[8:9], s[20:21], v12, s6, 0
	v_add3_u32 v9, v9, v14, v1
.LBB36_9:
	s_cbranch_execz .LBB36_11
	s_branch .LBB36_14
.LBB36_10:
                                        ; implicit-def: $vgpr8_vgpr9
.LBB36_11:
	s_andn2_b64 vcc, exec, s[2:3]
	s_cbranch_vccnz .LBB36_13
; %bb.12:
	v_mul_lo_u32 v1, v13, s6
	v_mul_lo_u32 v8, v12, s7
	v_mad_u64_u32 v[12:13], s[2:3], v12, s6, 0
	v_add3_u32 v13, v13, v8, v1
.LBB36_13:
	v_pk_mov_b32 v[8:9], v[12:13], v[12:13] op_sel:[0,1]
.LBB36_14:
	s_cmp_eq_u32 s15, 1
	s_cselect_b64 s[20:21], -1, 0
	s_cmpk_eq_i32 s13, 0x6f
	v_mov_b32_e32 v1, s17
	s_cselect_b64 s[22:23], -1, 0
	s_cmpk_lg_i32 s13, 0x6f
	s_waitcnt vmcnt(0)
	v_subrev_co_u32_e32 v12, vcc, s16, v10
	s_cselect_b64 s[2:3], -1, 0
	s_cmp_lg_u32 s15, 1
	v_subb_co_u32_e32 v13, vcc, v11, v1, vcc
	s_cbranch_scc0 .LBB36_18
; %bb.15:
	s_andn2_b64 vcc, exec, s[2:3]
	v_pk_mov_b32 v[10:11], v[12:13], v[12:13] op_sel:[0,1]
	s_cbranch_vccnz .LBB36_17
; %bb.16:
	v_mul_lo_u32 v1, v13, s8
	v_mul_lo_u32 v14, v12, s9
	v_mad_u64_u32 v[10:11], s[2:3], v12, s8, 0
	v_add3_u32 v11, v11, v14, v1
.LBB36_17:
	s_cbranch_execz .LBB36_19
	s_branch .LBB36_22
.LBB36_18:
                                        ; implicit-def: $vgpr10_vgpr11
.LBB36_19:
	s_andn2_b64 vcc, exec, s[22:23]
	s_cbranch_vccnz .LBB36_21
; %bb.20:
	v_mul_lo_u32 v1, v13, s8
	v_mul_lo_u32 v10, v12, s9
	v_mad_u64_u32 v[12:13], s[2:3], v12, s8, 0
	v_add3_u32 v13, v13, v10, v1
.LBB36_21:
	v_pk_mov_b32 v[10:11], v[12:13], v[12:13] op_sel:[0,1]
.LBB36_22:
	s_load_dwordx2 s[2:3], s[4:5], 0x60
	v_and_b32_e32 v0, 7, v0
	v_mov_b32_e32 v1, 0
	v_cmp_gt_i64_e32 vcc, s[0:1], v[0:1]
	v_pk_mov_b32 v[12:13], 0, 0
	s_and_saveexec_b64 s[12:13], vcc
	s_cbranch_execz .LBB36_26
; %bb.23:
	s_load_dwordx2 s[14:15], s[4:5], 0x38
	s_load_dwordx2 s[16:17], s[4:5], 0x48
	s_xor_b64 s[4:5], s[18:19], s[10:11]
	s_and_b64 s[4:5], s[4:5], exec
	s_cselect_b32 s7, 0, s7
	s_cselect_b32 s6, 1, s6
	s_xor_b64 s[4:5], s[22:23], s[20:21]
	s_and_b64 s[4:5], s[4:5], exec
	s_cselect_b32 s4, s8, 1
	s_cselect_b32 s5, s9, 0
	v_mad_u64_u32 v[12:13], s[8:9], s4, v0, 0
	v_mov_b32_e32 v14, v13
	v_mad_u64_u32 v[14:15], s[8:9], s5, v0, v[14:15]
	v_mov_b32_e32 v13, v14
	v_lshlrev_b64 v[12:13], 3, v[12:13]
	v_lshlrev_b64 v[10:11], 3, v[10:11]
	v_add_co_u32_e32 v10, vcc, v12, v10
	v_addc_co_u32_e32 v11, vcc, v13, v11, vcc
	s_waitcnt lgkmcnt(0)
	v_mov_b32_e32 v12, s17
	v_add_co_u32_e32 v10, vcc, s16, v10
	v_addc_co_u32_e32 v11, vcc, v12, v11, vcc
	v_mad_u64_u32 v[12:13], s[8:9], s6, v0, 0
	v_mov_b32_e32 v14, v13
	v_mad_u64_u32 v[14:15], s[8:9], s7, v0, v[14:15]
	v_mov_b32_e32 v13, v14
	v_lshlrev_b64 v[12:13], 3, v[12:13]
	v_lshlrev_b64 v[8:9], 3, v[8:9]
	v_add_co_u32_e32 v8, vcc, v12, v8
	v_addc_co_u32_e32 v9, vcc, v13, v9, vcc
	s_lshl_b64 s[4:5], s[4:5], 6
	v_mov_b32_e32 v12, s15
	v_add_co_u32_e32 v8, vcc, s14, v8
	s_lshl_b64 s[8:9], s[6:7], 6
	v_addc_co_u32_e32 v9, vcc, v12, v9, vcc
	s_mov_b64 s[6:7], 0
	v_pk_mov_b32 v[12:13], 0, 0
	v_mov_b32_e32 v17, s5
	v_mov_b32_e32 v18, s9
	v_pk_mov_b32 v[14:15], v[0:1], v[0:1] op_sel:[0,1]
.LBB36_24:                              ; =>This Inner Loop Header: Depth=1
	global_load_dwordx2 v[20:21], v[8:9], off
	global_load_dwordx2 v[22:23], v[10:11], off
	v_add_co_u32_e32 v14, vcc, 8, v14
	v_addc_co_u32_e32 v15, vcc, 0, v15, vcc
	v_add_co_u32_e32 v10, vcc, s4, v10
	v_addc_co_u32_e32 v11, vcc, v11, v17, vcc
	;; [unrolled: 2-line block ×3, first 2 shown]
	v_cmp_le_i64_e32 vcc, s[0:1], v[14:15]
	s_or_b64 s[6:7], vcc, s[6:7]
	s_waitcnt vmcnt(0)
	v_fmac_f64_e32 v[12:13], v[20:21], v[22:23]
	s_andn2_b64 exec, exec, s[6:7]
	s_cbranch_execnz .LBB36_24
; %bb.25:
	s_or_b64 exec, exec, s[6:7]
.LBB36_26:
	s_or_b64 exec, exec, s[12:13]
	v_lshlrev_b32_e32 v1, 3, v0
	v_lshl_or_b32 v1, v16, 6, v1
	v_cmp_gt_u32_e32 vcc, 4, v0
	ds_write_b64 v1, v[12:13]
	s_waitcnt lgkmcnt(0)
	s_barrier
	s_and_saveexec_b64 s[0:1], vcc
	s_cbranch_execz .LBB36_28
; %bb.27:
	ds_read2_b64 v[8:11], v1 offset1:4
	s_waitcnt lgkmcnt(0)
	v_add_f64 v[8:9], v[10:11], v[8:9]
	ds_write_b64 v1, v[8:9]
.LBB36_28:
	s_or_b64 exec, exec, s[0:1]
	v_cmp_gt_u32_e32 vcc, 2, v0
	s_waitcnt lgkmcnt(0)
	s_barrier
	s_and_saveexec_b64 s[0:1], vcc
	s_cbranch_execz .LBB36_30
; %bb.29:
	ds_read2_b64 v[8:11], v1 offset1:2
	s_waitcnt lgkmcnt(0)
	v_add_f64 v[8:9], v[10:11], v[8:9]
	ds_write_b64 v1, v[8:9]
.LBB36_30:
	s_or_b64 exec, exec, s[0:1]
	v_cmp_eq_u32_e32 vcc, 0, v0
	v_lshlrev_b32_e32 v0, 6, v16
	s_waitcnt lgkmcnt(0)
	s_barrier
	s_and_saveexec_b64 s[0:1], vcc
	s_cbranch_execz .LBB36_32
; %bb.31:
	ds_read_b64 v[8:9], v0 offset:8
	ds_read_b64 v[10:11], v1
	s_waitcnt lgkmcnt(0)
	v_add_f64 v[8:9], v[8:9], v[10:11]
	ds_write_b64 v1, v[8:9]
.LBB36_32:
	s_or_b64 exec, exec, s[0:1]
	s_waitcnt lgkmcnt(0)
	s_barrier
	s_and_b64 exec, exec, vcc
	s_cbranch_execz .LBB36_34
; %bb.33:
	v_mov_b32_e32 v1, s3
	v_add_co_u32_e32 v6, vcc, s2, v6
	v_addc_co_u32_e32 v7, vcc, v1, v7, vcc
	global_load_dwordx2 v[8:9], v[6:7], off
	ds_read_b64 v[0:1], v0
	s_waitcnt lgkmcnt(0)
	v_mul_f64 v[0:1], v[2:3], v[0:1]
	s_waitcnt vmcnt(0)
	v_fmac_f64_e32 v[0:1], v[4:5], v[8:9]
	global_store_dwordx2 v[6:7], v[0:1], off
.LBB36_34:
	s_endpgm
	.section	.rodata,"a",@progbits
	.p2align	6, 0x0
	.amdhsa_kernel _ZN9rocsparseL17sddmm_coox_kernelILi512ELi8ELb0EdlldddEEv20rocsparse_operation_S1_16rocsparse_order_S2_T4_S3_S3_T3_NS_24const_host_device_scalarIT2_EEPKT5_lPKT6_lS7_PT7_PKS4_SH_21rocsparse_index_base_b
		.amdhsa_group_segment_fixed_size 4096
		.amdhsa_private_segment_fixed_size 0
		.amdhsa_kernarg_size 128
		.amdhsa_user_sgpr_count 6
		.amdhsa_user_sgpr_private_segment_buffer 1
		.amdhsa_user_sgpr_dispatch_ptr 0
		.amdhsa_user_sgpr_queue_ptr 0
		.amdhsa_user_sgpr_kernarg_segment_ptr 1
		.amdhsa_user_sgpr_dispatch_id 0
		.amdhsa_user_sgpr_flat_scratch_init 0
		.amdhsa_user_sgpr_kernarg_preload_length 0
		.amdhsa_user_sgpr_kernarg_preload_offset 0
		.amdhsa_user_sgpr_private_segment_size 0
		.amdhsa_uses_dynamic_stack 0
		.amdhsa_system_sgpr_private_segment_wavefront_offset 0
		.amdhsa_system_sgpr_workgroup_id_x 1
		.amdhsa_system_sgpr_workgroup_id_y 0
		.amdhsa_system_sgpr_workgroup_id_z 0
		.amdhsa_system_sgpr_workgroup_info 0
		.amdhsa_system_vgpr_workitem_id 0
		.amdhsa_next_free_vgpr 24
		.amdhsa_next_free_sgpr 24
		.amdhsa_accum_offset 24
		.amdhsa_reserve_vcc 1
		.amdhsa_reserve_flat_scratch 0
		.amdhsa_float_round_mode_32 0
		.amdhsa_float_round_mode_16_64 0
		.amdhsa_float_denorm_mode_32 3
		.amdhsa_float_denorm_mode_16_64 3
		.amdhsa_dx10_clamp 1
		.amdhsa_ieee_mode 1
		.amdhsa_fp16_overflow 0
		.amdhsa_tg_split 0
		.amdhsa_exception_fp_ieee_invalid_op 0
		.amdhsa_exception_fp_denorm_src 0
		.amdhsa_exception_fp_ieee_div_zero 0
		.amdhsa_exception_fp_ieee_overflow 0
		.amdhsa_exception_fp_ieee_underflow 0
		.amdhsa_exception_fp_ieee_inexact 0
		.amdhsa_exception_int_div_zero 0
	.end_amdhsa_kernel
	.section	.text._ZN9rocsparseL17sddmm_coox_kernelILi512ELi8ELb0EdlldddEEv20rocsparse_operation_S1_16rocsparse_order_S2_T4_S3_S3_T3_NS_24const_host_device_scalarIT2_EEPKT5_lPKT6_lS7_PT7_PKS4_SH_21rocsparse_index_base_b,"axG",@progbits,_ZN9rocsparseL17sddmm_coox_kernelILi512ELi8ELb0EdlldddEEv20rocsparse_operation_S1_16rocsparse_order_S2_T4_S3_S3_T3_NS_24const_host_device_scalarIT2_EEPKT5_lPKT6_lS7_PT7_PKS4_SH_21rocsparse_index_base_b,comdat
.Lfunc_end36:
	.size	_ZN9rocsparseL17sddmm_coox_kernelILi512ELi8ELb0EdlldddEEv20rocsparse_operation_S1_16rocsparse_order_S2_T4_S3_S3_T3_NS_24const_host_device_scalarIT2_EEPKT5_lPKT6_lS7_PT7_PKS4_SH_21rocsparse_index_base_b, .Lfunc_end36-_ZN9rocsparseL17sddmm_coox_kernelILi512ELi8ELb0EdlldddEEv20rocsparse_operation_S1_16rocsparse_order_S2_T4_S3_S3_T3_NS_24const_host_device_scalarIT2_EEPKT5_lPKT6_lS7_PT7_PKS4_SH_21rocsparse_index_base_b
                                        ; -- End function
	.section	.AMDGPU.csdata,"",@progbits
; Kernel info:
; codeLenInByte = 1136
; NumSgprs: 28
; NumVgprs: 24
; NumAgprs: 0
; TotalNumVgprs: 24
; ScratchSize: 0
; MemoryBound: 0
; FloatMode: 240
; IeeeMode: 1
; LDSByteSize: 4096 bytes/workgroup (compile time only)
; SGPRBlocks: 3
; VGPRBlocks: 2
; NumSGPRsForWavesPerEU: 28
; NumVGPRsForWavesPerEU: 24
; AccumOffset: 24
; Occupancy: 8
; WaveLimiterHint : 0
; COMPUTE_PGM_RSRC2:SCRATCH_EN: 0
; COMPUTE_PGM_RSRC2:USER_SGPR: 6
; COMPUTE_PGM_RSRC2:TRAP_HANDLER: 0
; COMPUTE_PGM_RSRC2:TGID_X_EN: 1
; COMPUTE_PGM_RSRC2:TGID_Y_EN: 0
; COMPUTE_PGM_RSRC2:TGID_Z_EN: 0
; COMPUTE_PGM_RSRC2:TIDIG_COMP_CNT: 0
; COMPUTE_PGM_RSRC3_GFX90A:ACCUM_OFFSET: 5
; COMPUTE_PGM_RSRC3_GFX90A:TG_SPLIT: 0
	.section	.text._ZN9rocsparseL17sddmm_coox_kernelILi512ELi4ELb0EdlldddEEv20rocsparse_operation_S1_16rocsparse_order_S2_T4_S3_S3_T3_NS_24const_host_device_scalarIT2_EEPKT5_lPKT6_lS7_PT7_PKS4_SH_21rocsparse_index_base_b,"axG",@progbits,_ZN9rocsparseL17sddmm_coox_kernelILi512ELi4ELb0EdlldddEEv20rocsparse_operation_S1_16rocsparse_order_S2_T4_S3_S3_T3_NS_24const_host_device_scalarIT2_EEPKT5_lPKT6_lS7_PT7_PKS4_SH_21rocsparse_index_base_b,comdat
	.globl	_ZN9rocsparseL17sddmm_coox_kernelILi512ELi4ELb0EdlldddEEv20rocsparse_operation_S1_16rocsparse_order_S2_T4_S3_S3_T3_NS_24const_host_device_scalarIT2_EEPKT5_lPKT6_lS7_PT7_PKS4_SH_21rocsparse_index_base_b ; -- Begin function _ZN9rocsparseL17sddmm_coox_kernelILi512ELi4ELb0EdlldddEEv20rocsparse_operation_S1_16rocsparse_order_S2_T4_S3_S3_T3_NS_24const_host_device_scalarIT2_EEPKT5_lPKT6_lS7_PT7_PKS4_SH_21rocsparse_index_base_b
	.p2align	8
	.type	_ZN9rocsparseL17sddmm_coox_kernelILi512ELi4ELb0EdlldddEEv20rocsparse_operation_S1_16rocsparse_order_S2_T4_S3_S3_T3_NS_24const_host_device_scalarIT2_EEPKT5_lPKT6_lS7_PT7_PKS4_SH_21rocsparse_index_base_b,@function
_ZN9rocsparseL17sddmm_coox_kernelILi512ELi4ELb0EdlldddEEv20rocsparse_operation_S1_16rocsparse_order_S2_T4_S3_S3_T3_NS_24const_host_device_scalarIT2_EEPKT5_lPKT6_lS7_PT7_PKS4_SH_21rocsparse_index_base_b: ; @_ZN9rocsparseL17sddmm_coox_kernelILi512ELi4ELb0EdlldddEEv20rocsparse_operation_S1_16rocsparse_order_S2_T4_S3_S3_T3_NS_24const_host_device_scalarIT2_EEPKT5_lPKT6_lS7_PT7_PKS4_SH_21rocsparse_index_base_b
; %bb.0:
	s_load_dwordx2 s[16:17], s[4:5], 0x78
	s_load_dwordx2 s[2:3], s[4:5], 0x30
	s_load_dwordx4 s[8:11], s[4:5], 0x50
	s_waitcnt lgkmcnt(0)
	s_bitcmp1_b32 s17, 0
	s_cselect_b64 s[12:13], -1, 0
	s_xor_b64 s[0:1], s[12:13], -1
	s_and_b64 vcc, exec, s[12:13]
	v_pk_mov_b32 v[2:3], s[2:3], s[2:3] op_sel:[0,1]
	s_cbranch_vccnz .LBB37_2
; %bb.1:
	v_pk_mov_b32 v[2:3], s[2:3], s[2:3] op_sel:[0,1]
	flat_load_dwordx2 v[2:3], v[2:3]
.LBB37_2:
	s_andn2_b64 vcc, exec, s[0:1]
	v_pk_mov_b32 v[4:5], s[10:11], s[10:11] op_sel:[0,1]
	s_cbranch_vccnz .LBB37_4
; %bb.3:
	v_pk_mov_b32 v[4:5], s[10:11], s[10:11] op_sel:[0,1]
	flat_load_dwordx2 v[4:5], v[4:5]
.LBB37_4:
	s_waitcnt vmcnt(0) lgkmcnt(0)
	v_cmp_neq_f64_e32 vcc, 0, v[2:3]
	v_cmp_neq_f64_e64 s[0:1], 1.0, v[4:5]
	s_or_b64 s[0:1], vcc, s[0:1]
	s_and_saveexec_b64 s[2:3], s[0:1]
	s_cbranch_execz .LBB37_32
; %bb.5:
	s_load_dwordx4 s[0:3], s[4:5], 0x20
	v_lshrrev_b32_e32 v16, 2, v0
	v_lshl_or_b32 v6, s6, 7, v16
	v_mov_b32_e32 v7, 0
	s_waitcnt lgkmcnt(0)
	v_cmp_gt_i64_e32 vcc, s[2:3], v[6:7]
	s_and_b64 exec, exec, vcc
	s_cbranch_execz .LBB37_32
; %bb.6:
	s_load_dwordx4 s[12:15], s[4:5], 0x68
	v_lshlrev_b64 v[6:7], 3, v[6:7]
	s_mov_b32 s17, 0
	s_waitcnt lgkmcnt(0)
	v_mov_b32_e32 v1, s13
	v_add_co_u32_e32 v8, vcc, s12, v6
	v_addc_co_u32_e32 v9, vcc, v1, v7, vcc
	global_load_dwordx2 v[8:9], v[8:9], off
	v_mov_b32_e32 v1, s15
	v_add_co_u32_e32 v10, vcc, s14, v6
	v_addc_co_u32_e32 v11, vcc, v1, v7, vcc
	global_load_dwordx2 v[10:11], v[10:11], off
	s_load_dwordx4 s[12:15], s[4:5], 0x0
	s_load_dwordx2 s[2:3], s[4:5], 0x40
	s_waitcnt lgkmcnt(0)
	s_cmp_eq_u32 s14, 1
	s_cselect_b64 s[10:11], -1, 0
	s_cmpk_eq_i32 s12, 0x6f
	s_cselect_b64 s[18:19], -1, 0
	s_cmpk_lg_i32 s12, 0x6f
	s_cselect_b64 s[6:7], -1, 0
	s_cmp_lg_u32 s14, 1
	s_waitcnt vmcnt(1)
	v_subrev_co_u32_e32 v12, vcc, s16, v8
	v_subbrev_co_u32_e32 v13, vcc, 0, v9, vcc
	s_cbranch_scc0 .LBB37_10
; %bb.7:
	s_andn2_b64 vcc, exec, s[18:19]
	v_pk_mov_b32 v[8:9], v[12:13], v[12:13] op_sel:[0,1]
	s_cbranch_vccnz .LBB37_9
; %bb.8:
	v_mul_lo_u32 v1, v13, s2
	v_mul_lo_u32 v14, v12, s3
	v_mad_u64_u32 v[8:9], s[20:21], v12, s2, 0
	v_add3_u32 v9, v9, v14, v1
.LBB37_9:
	s_cbranch_execz .LBB37_11
	s_branch .LBB37_14
.LBB37_10:
                                        ; implicit-def: $vgpr8_vgpr9
.LBB37_11:
	s_andn2_b64 vcc, exec, s[6:7]
	s_cbranch_vccnz .LBB37_13
; %bb.12:
	v_mul_lo_u32 v1, v13, s2
	v_mul_lo_u32 v8, v12, s3
	v_mad_u64_u32 v[12:13], s[6:7], v12, s2, 0
	v_add3_u32 v13, v13, v8, v1
.LBB37_13:
	v_pk_mov_b32 v[8:9], v[12:13], v[12:13] op_sel:[0,1]
.LBB37_14:
	s_cmp_eq_u32 s15, 1
	s_cselect_b64 s[20:21], -1, 0
	s_cmpk_eq_i32 s13, 0x6f
	v_mov_b32_e32 v1, s17
	s_cselect_b64 s[22:23], -1, 0
	s_cmpk_lg_i32 s13, 0x6f
	s_waitcnt vmcnt(0)
	v_subrev_co_u32_e32 v12, vcc, s16, v10
	s_cselect_b64 s[6:7], -1, 0
	s_cmp_lg_u32 s15, 1
	v_subb_co_u32_e32 v13, vcc, v11, v1, vcc
	s_cbranch_scc0 .LBB37_18
; %bb.15:
	s_andn2_b64 vcc, exec, s[6:7]
	v_pk_mov_b32 v[10:11], v[12:13], v[12:13] op_sel:[0,1]
	s_cbranch_vccnz .LBB37_17
; %bb.16:
	v_mul_lo_u32 v1, v13, s8
	v_mul_lo_u32 v14, v12, s9
	v_mad_u64_u32 v[10:11], s[6:7], v12, s8, 0
	v_add3_u32 v11, v11, v14, v1
.LBB37_17:
	s_cbranch_execz .LBB37_19
	s_branch .LBB37_22
.LBB37_18:
                                        ; implicit-def: $vgpr10_vgpr11
.LBB37_19:
	s_andn2_b64 vcc, exec, s[22:23]
	s_cbranch_vccnz .LBB37_21
; %bb.20:
	v_mul_lo_u32 v1, v13, s8
	v_mul_lo_u32 v10, v12, s9
	v_mad_u64_u32 v[12:13], s[6:7], v12, s8, 0
	v_add3_u32 v13, v13, v10, v1
.LBB37_21:
	v_pk_mov_b32 v[10:11], v[12:13], v[12:13] op_sel:[0,1]
.LBB37_22:
	s_load_dwordx2 s[6:7], s[4:5], 0x60
	v_and_b32_e32 v0, 3, v0
	v_mov_b32_e32 v1, 0
	v_cmp_gt_i64_e32 vcc, s[0:1], v[0:1]
	v_pk_mov_b32 v[12:13], 0, 0
	s_and_saveexec_b64 s[12:13], vcc
	s_cbranch_execz .LBB37_26
; %bb.23:
	s_load_dwordx2 s[14:15], s[4:5], 0x38
	s_load_dwordx2 s[16:17], s[4:5], 0x48
	s_xor_b64 s[4:5], s[18:19], s[10:11]
	s_and_b64 s[4:5], s[4:5], exec
	s_cselect_b32 s5, 0, s3
	s_cselect_b32 s4, 1, s2
	s_xor_b64 s[2:3], s[22:23], s[20:21]
	s_and_b64 s[2:3], s[2:3], exec
	s_cselect_b32 s2, s8, 1
	s_cselect_b32 s3, s9, 0
	v_mad_u64_u32 v[12:13], s[8:9], s2, v0, 0
	v_mov_b32_e32 v14, v13
	v_mad_u64_u32 v[14:15], s[8:9], s3, v0, v[14:15]
	v_mov_b32_e32 v13, v14
	v_lshlrev_b64 v[12:13], 3, v[12:13]
	v_lshlrev_b64 v[10:11], 3, v[10:11]
	v_add_co_u32_e32 v10, vcc, v12, v10
	v_addc_co_u32_e32 v11, vcc, v13, v11, vcc
	s_waitcnt lgkmcnt(0)
	v_mov_b32_e32 v12, s17
	v_add_co_u32_e32 v10, vcc, s16, v10
	v_addc_co_u32_e32 v11, vcc, v12, v11, vcc
	v_mad_u64_u32 v[12:13], s[8:9], s4, v0, 0
	v_mov_b32_e32 v14, v13
	v_mad_u64_u32 v[14:15], s[8:9], s5, v0, v[14:15]
	v_mov_b32_e32 v13, v14
	v_lshlrev_b64 v[12:13], 3, v[12:13]
	v_lshlrev_b64 v[8:9], 3, v[8:9]
	v_add_co_u32_e32 v8, vcc, v12, v8
	v_addc_co_u32_e32 v9, vcc, v13, v9, vcc
	s_lshl_b64 s[2:3], s[2:3], 5
	v_mov_b32_e32 v12, s15
	v_add_co_u32_e32 v8, vcc, s14, v8
	s_lshl_b64 s[8:9], s[4:5], 5
	v_addc_co_u32_e32 v9, vcc, v12, v9, vcc
	s_mov_b64 s[4:5], 0
	v_pk_mov_b32 v[12:13], 0, 0
	v_mov_b32_e32 v17, s3
	v_mov_b32_e32 v18, s9
	v_pk_mov_b32 v[14:15], v[0:1], v[0:1] op_sel:[0,1]
.LBB37_24:                              ; =>This Inner Loop Header: Depth=1
	global_load_dwordx2 v[20:21], v[8:9], off
	global_load_dwordx2 v[22:23], v[10:11], off
	v_add_co_u32_e32 v14, vcc, 4, v14
	v_addc_co_u32_e32 v15, vcc, 0, v15, vcc
	v_add_co_u32_e32 v10, vcc, s2, v10
	v_addc_co_u32_e32 v11, vcc, v11, v17, vcc
	;; [unrolled: 2-line block ×3, first 2 shown]
	v_cmp_le_i64_e32 vcc, s[0:1], v[14:15]
	s_or_b64 s[4:5], vcc, s[4:5]
	s_waitcnt vmcnt(0)
	v_fmac_f64_e32 v[12:13], v[20:21], v[22:23]
	s_andn2_b64 exec, exec, s[4:5]
	s_cbranch_execnz .LBB37_24
; %bb.25:
	s_or_b64 exec, exec, s[4:5]
.LBB37_26:
	s_or_b64 exec, exec, s[12:13]
	v_lshlrev_b32_e32 v1, 3, v0
	v_lshl_or_b32 v1, v16, 5, v1
	v_cmp_gt_u32_e32 vcc, 2, v0
	ds_write_b64 v1, v[12:13]
	s_waitcnt lgkmcnt(0)
	s_barrier
	s_and_saveexec_b64 s[0:1], vcc
	s_cbranch_execz .LBB37_28
; %bb.27:
	ds_read2_b64 v[8:11], v1 offset1:2
	s_waitcnt lgkmcnt(0)
	v_add_f64 v[8:9], v[10:11], v[8:9]
	ds_write_b64 v1, v[8:9]
.LBB37_28:
	s_or_b64 exec, exec, s[0:1]
	v_cmp_eq_u32_e32 vcc, 0, v0
	v_lshlrev_b32_e32 v0, 5, v16
	s_waitcnt lgkmcnt(0)
	s_barrier
	s_and_saveexec_b64 s[0:1], vcc
	s_cbranch_execz .LBB37_30
; %bb.29:
	ds_read_b64 v[8:9], v0 offset:8
	ds_read_b64 v[10:11], v1
	s_waitcnt lgkmcnt(0)
	v_add_f64 v[8:9], v[8:9], v[10:11]
	ds_write_b64 v1, v[8:9]
.LBB37_30:
	s_or_b64 exec, exec, s[0:1]
	s_waitcnt lgkmcnt(0)
	s_barrier
	s_and_b64 exec, exec, vcc
	s_cbranch_execz .LBB37_32
; %bb.31:
	v_mov_b32_e32 v1, s7
	v_add_co_u32_e32 v6, vcc, s6, v6
	v_addc_co_u32_e32 v7, vcc, v1, v7, vcc
	global_load_dwordx2 v[8:9], v[6:7], off
	ds_read_b64 v[0:1], v0
	s_waitcnt lgkmcnt(0)
	v_mul_f64 v[0:1], v[2:3], v[0:1]
	s_waitcnt vmcnt(0)
	v_fmac_f64_e32 v[0:1], v[4:5], v[8:9]
	global_store_dwordx2 v[6:7], v[0:1], off
.LBB37_32:
	s_endpgm
	.section	.rodata,"a",@progbits
	.p2align	6, 0x0
	.amdhsa_kernel _ZN9rocsparseL17sddmm_coox_kernelILi512ELi4ELb0EdlldddEEv20rocsparse_operation_S1_16rocsparse_order_S2_T4_S3_S3_T3_NS_24const_host_device_scalarIT2_EEPKT5_lPKT6_lS7_PT7_PKS4_SH_21rocsparse_index_base_b
		.amdhsa_group_segment_fixed_size 4096
		.amdhsa_private_segment_fixed_size 0
		.amdhsa_kernarg_size 128
		.amdhsa_user_sgpr_count 6
		.amdhsa_user_sgpr_private_segment_buffer 1
		.amdhsa_user_sgpr_dispatch_ptr 0
		.amdhsa_user_sgpr_queue_ptr 0
		.amdhsa_user_sgpr_kernarg_segment_ptr 1
		.amdhsa_user_sgpr_dispatch_id 0
		.amdhsa_user_sgpr_flat_scratch_init 0
		.amdhsa_user_sgpr_kernarg_preload_length 0
		.amdhsa_user_sgpr_kernarg_preload_offset 0
		.amdhsa_user_sgpr_private_segment_size 0
		.amdhsa_uses_dynamic_stack 0
		.amdhsa_system_sgpr_private_segment_wavefront_offset 0
		.amdhsa_system_sgpr_workgroup_id_x 1
		.amdhsa_system_sgpr_workgroup_id_y 0
		.amdhsa_system_sgpr_workgroup_id_z 0
		.amdhsa_system_sgpr_workgroup_info 0
		.amdhsa_system_vgpr_workitem_id 0
		.amdhsa_next_free_vgpr 24
		.amdhsa_next_free_sgpr 24
		.amdhsa_accum_offset 24
		.amdhsa_reserve_vcc 1
		.amdhsa_reserve_flat_scratch 0
		.amdhsa_float_round_mode_32 0
		.amdhsa_float_round_mode_16_64 0
		.amdhsa_float_denorm_mode_32 3
		.amdhsa_float_denorm_mode_16_64 3
		.amdhsa_dx10_clamp 1
		.amdhsa_ieee_mode 1
		.amdhsa_fp16_overflow 0
		.amdhsa_tg_split 0
		.amdhsa_exception_fp_ieee_invalid_op 0
		.amdhsa_exception_fp_denorm_src 0
		.amdhsa_exception_fp_ieee_div_zero 0
		.amdhsa_exception_fp_ieee_overflow 0
		.amdhsa_exception_fp_ieee_underflow 0
		.amdhsa_exception_fp_ieee_inexact 0
		.amdhsa_exception_int_div_zero 0
	.end_amdhsa_kernel
	.section	.text._ZN9rocsparseL17sddmm_coox_kernelILi512ELi4ELb0EdlldddEEv20rocsparse_operation_S1_16rocsparse_order_S2_T4_S3_S3_T3_NS_24const_host_device_scalarIT2_EEPKT5_lPKT6_lS7_PT7_PKS4_SH_21rocsparse_index_base_b,"axG",@progbits,_ZN9rocsparseL17sddmm_coox_kernelILi512ELi4ELb0EdlldddEEv20rocsparse_operation_S1_16rocsparse_order_S2_T4_S3_S3_T3_NS_24const_host_device_scalarIT2_EEPKT5_lPKT6_lS7_PT7_PKS4_SH_21rocsparse_index_base_b,comdat
.Lfunc_end37:
	.size	_ZN9rocsparseL17sddmm_coox_kernelILi512ELi4ELb0EdlldddEEv20rocsparse_operation_S1_16rocsparse_order_S2_T4_S3_S3_T3_NS_24const_host_device_scalarIT2_EEPKT5_lPKT6_lS7_PT7_PKS4_SH_21rocsparse_index_base_b, .Lfunc_end37-_ZN9rocsparseL17sddmm_coox_kernelILi512ELi4ELb0EdlldddEEv20rocsparse_operation_S1_16rocsparse_order_S2_T4_S3_S3_T3_NS_24const_host_device_scalarIT2_EEPKT5_lPKT6_lS7_PT7_PKS4_SH_21rocsparse_index_base_b
                                        ; -- End function
	.section	.AMDGPU.csdata,"",@progbits
; Kernel info:
; codeLenInByte = 1084
; NumSgprs: 28
; NumVgprs: 24
; NumAgprs: 0
; TotalNumVgprs: 24
; ScratchSize: 0
; MemoryBound: 0
; FloatMode: 240
; IeeeMode: 1
; LDSByteSize: 4096 bytes/workgroup (compile time only)
; SGPRBlocks: 3
; VGPRBlocks: 2
; NumSGPRsForWavesPerEU: 28
; NumVGPRsForWavesPerEU: 24
; AccumOffset: 24
; Occupancy: 8
; WaveLimiterHint : 0
; COMPUTE_PGM_RSRC2:SCRATCH_EN: 0
; COMPUTE_PGM_RSRC2:USER_SGPR: 6
; COMPUTE_PGM_RSRC2:TRAP_HANDLER: 0
; COMPUTE_PGM_RSRC2:TGID_X_EN: 1
; COMPUTE_PGM_RSRC2:TGID_Y_EN: 0
; COMPUTE_PGM_RSRC2:TGID_Z_EN: 0
; COMPUTE_PGM_RSRC2:TIDIG_COMP_CNT: 0
; COMPUTE_PGM_RSRC3_GFX90A:ACCUM_OFFSET: 5
; COMPUTE_PGM_RSRC3_GFX90A:TG_SPLIT: 0
	.section	.text._ZN9rocsparseL17sddmm_coox_kernelILi512ELi2ELb0EdlldddEEv20rocsparse_operation_S1_16rocsparse_order_S2_T4_S3_S3_T3_NS_24const_host_device_scalarIT2_EEPKT5_lPKT6_lS7_PT7_PKS4_SH_21rocsparse_index_base_b,"axG",@progbits,_ZN9rocsparseL17sddmm_coox_kernelILi512ELi2ELb0EdlldddEEv20rocsparse_operation_S1_16rocsparse_order_S2_T4_S3_S3_T3_NS_24const_host_device_scalarIT2_EEPKT5_lPKT6_lS7_PT7_PKS4_SH_21rocsparse_index_base_b,comdat
	.globl	_ZN9rocsparseL17sddmm_coox_kernelILi512ELi2ELb0EdlldddEEv20rocsparse_operation_S1_16rocsparse_order_S2_T4_S3_S3_T3_NS_24const_host_device_scalarIT2_EEPKT5_lPKT6_lS7_PT7_PKS4_SH_21rocsparse_index_base_b ; -- Begin function _ZN9rocsparseL17sddmm_coox_kernelILi512ELi2ELb0EdlldddEEv20rocsparse_operation_S1_16rocsparse_order_S2_T4_S3_S3_T3_NS_24const_host_device_scalarIT2_EEPKT5_lPKT6_lS7_PT7_PKS4_SH_21rocsparse_index_base_b
	.p2align	8
	.type	_ZN9rocsparseL17sddmm_coox_kernelILi512ELi2ELb0EdlldddEEv20rocsparse_operation_S1_16rocsparse_order_S2_T4_S3_S3_T3_NS_24const_host_device_scalarIT2_EEPKT5_lPKT6_lS7_PT7_PKS4_SH_21rocsparse_index_base_b,@function
_ZN9rocsparseL17sddmm_coox_kernelILi512ELi2ELb0EdlldddEEv20rocsparse_operation_S1_16rocsparse_order_S2_T4_S3_S3_T3_NS_24const_host_device_scalarIT2_EEPKT5_lPKT6_lS7_PT7_PKS4_SH_21rocsparse_index_base_b: ; @_ZN9rocsparseL17sddmm_coox_kernelILi512ELi2ELb0EdlldddEEv20rocsparse_operation_S1_16rocsparse_order_S2_T4_S3_S3_T3_NS_24const_host_device_scalarIT2_EEPKT5_lPKT6_lS7_PT7_PKS4_SH_21rocsparse_index_base_b
; %bb.0:
	s_load_dwordx2 s[16:17], s[4:5], 0x78
	s_load_dwordx2 s[2:3], s[4:5], 0x30
	s_load_dwordx4 s[8:11], s[4:5], 0x50
	s_waitcnt lgkmcnt(0)
	s_bitcmp1_b32 s17, 0
	s_cselect_b64 s[12:13], -1, 0
	s_xor_b64 s[0:1], s[12:13], -1
	s_and_b64 vcc, exec, s[12:13]
	v_pk_mov_b32 v[2:3], s[2:3], s[2:3] op_sel:[0,1]
	s_cbranch_vccnz .LBB38_2
; %bb.1:
	v_pk_mov_b32 v[2:3], s[2:3], s[2:3] op_sel:[0,1]
	flat_load_dwordx2 v[2:3], v[2:3]
.LBB38_2:
	s_andn2_b64 vcc, exec, s[0:1]
	v_pk_mov_b32 v[4:5], s[10:11], s[10:11] op_sel:[0,1]
	s_cbranch_vccnz .LBB38_4
; %bb.3:
	v_pk_mov_b32 v[4:5], s[10:11], s[10:11] op_sel:[0,1]
	flat_load_dwordx2 v[4:5], v[4:5]
.LBB38_4:
	s_waitcnt vmcnt(0) lgkmcnt(0)
	v_cmp_neq_f64_e32 vcc, 0, v[2:3]
	v_cmp_neq_f64_e64 s[0:1], 1.0, v[4:5]
	s_or_b64 s[0:1], vcc, s[0:1]
	s_and_saveexec_b64 s[2:3], s[0:1]
	s_cbranch_execz .LBB38_30
; %bb.5:
	s_load_dwordx4 s[0:3], s[4:5], 0x20
	v_lshrrev_b32_e32 v16, 1, v0
	v_lshl_or_b32 v6, s6, 8, v16
	v_mov_b32_e32 v7, 0
	s_waitcnt lgkmcnt(0)
	v_cmp_gt_i64_e32 vcc, s[2:3], v[6:7]
	s_and_b64 exec, exec, vcc
	s_cbranch_execz .LBB38_30
; %bb.6:
	s_load_dwordx4 s[12:15], s[4:5], 0x68
	v_lshlrev_b64 v[6:7], 3, v[6:7]
	s_mov_b32 s17, 0
	s_waitcnt lgkmcnt(0)
	v_mov_b32_e32 v1, s13
	v_add_co_u32_e32 v8, vcc, s12, v6
	v_addc_co_u32_e32 v9, vcc, v1, v7, vcc
	global_load_dwordx2 v[8:9], v[8:9], off
	v_mov_b32_e32 v1, s15
	v_add_co_u32_e32 v10, vcc, s14, v6
	v_addc_co_u32_e32 v11, vcc, v1, v7, vcc
	global_load_dwordx2 v[10:11], v[10:11], off
	s_load_dwordx4 s[12:15], s[4:5], 0x0
	s_load_dwordx2 s[2:3], s[4:5], 0x40
	s_waitcnt lgkmcnt(0)
	s_cmp_eq_u32 s14, 1
	s_cselect_b64 s[6:7], -1, 0
	s_cmpk_eq_i32 s12, 0x6f
	s_cselect_b64 s[10:11], -1, 0
	s_cmpk_lg_i32 s12, 0x6f
	s_cselect_b64 s[18:19], -1, 0
	s_cmp_lg_u32 s14, 1
	s_waitcnt vmcnt(1)
	v_subrev_co_u32_e32 v12, vcc, s16, v8
	v_subbrev_co_u32_e32 v13, vcc, 0, v9, vcc
	s_cbranch_scc0 .LBB38_10
; %bb.7:
	s_andn2_b64 vcc, exec, s[10:11]
	v_pk_mov_b32 v[8:9], v[12:13], v[12:13] op_sel:[0,1]
	s_cbranch_vccnz .LBB38_9
; %bb.8:
	v_mul_lo_u32 v1, v13, s2
	v_mul_lo_u32 v14, v12, s3
	v_mad_u64_u32 v[8:9], s[20:21], v12, s2, 0
	v_add3_u32 v9, v9, v14, v1
.LBB38_9:
	s_cbranch_execz .LBB38_11
	s_branch .LBB38_14
.LBB38_10:
                                        ; implicit-def: $vgpr8_vgpr9
.LBB38_11:
	s_andn2_b64 vcc, exec, s[18:19]
	s_cbranch_vccnz .LBB38_13
; %bb.12:
	v_mul_lo_u32 v1, v13, s2
	v_mul_lo_u32 v8, v12, s3
	v_mad_u64_u32 v[12:13], s[18:19], v12, s2, 0
	v_add3_u32 v13, v13, v8, v1
.LBB38_13:
	v_pk_mov_b32 v[8:9], v[12:13], v[12:13] op_sel:[0,1]
.LBB38_14:
	s_cmp_eq_u32 s15, 1
	s_cselect_b64 s[18:19], -1, 0
	s_cmpk_eq_i32 s13, 0x6f
	v_mov_b32_e32 v1, s17
	s_cselect_b64 s[20:21], -1, 0
	s_cmpk_lg_i32 s13, 0x6f
	s_waitcnt vmcnt(0)
	v_subrev_co_u32_e32 v12, vcc, s16, v10
	s_cselect_b64 s[12:13], -1, 0
	s_cmp_lg_u32 s15, 1
	v_subb_co_u32_e32 v13, vcc, v11, v1, vcc
	s_cbranch_scc0 .LBB38_18
; %bb.15:
	s_andn2_b64 vcc, exec, s[12:13]
	v_pk_mov_b32 v[10:11], v[12:13], v[12:13] op_sel:[0,1]
	s_cbranch_vccnz .LBB38_17
; %bb.16:
	v_mul_lo_u32 v1, v13, s8
	v_mul_lo_u32 v14, v12, s9
	v_mad_u64_u32 v[10:11], s[12:13], v12, s8, 0
	v_add3_u32 v11, v11, v14, v1
.LBB38_17:
	s_cbranch_execz .LBB38_19
	s_branch .LBB38_22
.LBB38_18:
                                        ; implicit-def: $vgpr10_vgpr11
.LBB38_19:
	s_andn2_b64 vcc, exec, s[20:21]
	s_cbranch_vccnz .LBB38_21
; %bb.20:
	v_mul_lo_u32 v1, v13, s8
	v_mul_lo_u32 v10, v12, s9
	v_mad_u64_u32 v[12:13], s[12:13], v12, s8, 0
	v_add3_u32 v13, v13, v10, v1
.LBB38_21:
	v_pk_mov_b32 v[10:11], v[12:13], v[12:13] op_sel:[0,1]
.LBB38_22:
	s_load_dwordx2 s[12:13], s[4:5], 0x60
	v_and_b32_e32 v0, 1, v0
	v_mov_b32_e32 v1, 0
	v_cmp_gt_i64_e32 vcc, s[0:1], v[0:1]
	v_pk_mov_b32 v[12:13], 0, 0
	s_and_saveexec_b64 s[14:15], vcc
	s_cbranch_execz .LBB38_26
; %bb.23:
	s_load_dwordx2 s[16:17], s[4:5], 0x38
	s_load_dwordx2 s[22:23], s[4:5], 0x48
	s_xor_b64 s[4:5], s[10:11], s[6:7]
	s_and_b64 s[4:5], s[4:5], exec
	s_cselect_b32 s5, 0, s3
	s_cselect_b32 s4, 1, s2
	s_xor_b64 s[2:3], s[20:21], s[18:19]
	s_and_b64 s[2:3], s[2:3], exec
	s_cselect_b32 s3, s9, 0
	s_cselect_b32 s2, s8, 1
	v_mul_lo_u32 v13, s3, v0
	v_mul_lo_u32 v12, s2, v0
	v_lshlrev_b64 v[12:13], 3, v[12:13]
	v_lshlrev_b64 v[10:11], 3, v[10:11]
	v_add_co_u32_e32 v10, vcc, v12, v10
	v_addc_co_u32_e32 v11, vcc, v13, v11, vcc
	s_waitcnt lgkmcnt(0)
	v_mov_b32_e32 v12, s23
	v_add_co_u32_e32 v10, vcc, s22, v10
	v_addc_co_u32_e32 v11, vcc, v12, v11, vcc
	v_mul_lo_u32 v13, s5, v0
	v_mul_lo_u32 v12, s4, v0
	v_lshlrev_b64 v[12:13], 3, v[12:13]
	v_lshlrev_b64 v[8:9], 3, v[8:9]
	v_add_co_u32_e32 v8, vcc, v12, v8
	v_addc_co_u32_e32 v9, vcc, v13, v9, vcc
	s_lshl_b64 s[2:3], s[2:3], 4
	v_mov_b32_e32 v12, s17
	v_add_co_u32_e32 v8, vcc, s16, v8
	s_lshl_b64 s[6:7], s[4:5], 4
	v_addc_co_u32_e32 v9, vcc, v12, v9, vcc
	s_mov_b64 s[4:5], 0
	v_pk_mov_b32 v[12:13], 0, 0
	v_mov_b32_e32 v17, s3
	v_mov_b32_e32 v18, s7
	v_pk_mov_b32 v[14:15], v[0:1], v[0:1] op_sel:[0,1]
.LBB38_24:                              ; =>This Inner Loop Header: Depth=1
	global_load_dwordx2 v[20:21], v[8:9], off
	global_load_dwordx2 v[22:23], v[10:11], off
	v_add_co_u32_e32 v14, vcc, 2, v14
	v_addc_co_u32_e32 v15, vcc, 0, v15, vcc
	v_add_co_u32_e32 v10, vcc, s2, v10
	v_addc_co_u32_e32 v11, vcc, v11, v17, vcc
	v_add_co_u32_e32 v8, vcc, s6, v8
	v_addc_co_u32_e32 v9, vcc, v9, v18, vcc
	v_cmp_le_i64_e32 vcc, s[0:1], v[14:15]
	s_or_b64 s[4:5], vcc, s[4:5]
	s_waitcnt vmcnt(0)
	v_fmac_f64_e32 v[12:13], v[20:21], v[22:23]
	s_andn2_b64 exec, exec, s[4:5]
	s_cbranch_execnz .LBB38_24
; %bb.25:
	s_or_b64 exec, exec, s[4:5]
.LBB38_26:
	s_or_b64 exec, exec, s[14:15]
	v_lshlrev_b32_e32 v1, 4, v16
	v_lshl_or_b32 v8, v0, 3, v1
	v_cmp_eq_u32_e32 vcc, 0, v0
	ds_write_b64 v8, v[12:13]
	s_waitcnt lgkmcnt(0)
	s_barrier
	s_and_saveexec_b64 s[0:1], vcc
	s_cbranch_execz .LBB38_28
; %bb.27:
	ds_read_b64 v[10:11], v1 offset:8
	ds_read_b64 v[12:13], v8
	s_waitcnt lgkmcnt(0)
	v_add_f64 v[10:11], v[10:11], v[12:13]
	ds_write_b64 v8, v[10:11]
.LBB38_28:
	s_or_b64 exec, exec, s[0:1]
	s_waitcnt lgkmcnt(0)
	s_barrier
	s_and_b64 exec, exec, vcc
	s_cbranch_execz .LBB38_30
; %bb.29:
	v_mov_b32_e32 v0, s13
	v_add_co_u32_e32 v6, vcc, s12, v6
	v_addc_co_u32_e32 v7, vcc, v0, v7, vcc
	global_load_dwordx2 v[8:9], v[6:7], off
	ds_read_b64 v[0:1], v1
	s_waitcnt lgkmcnt(0)
	v_mul_f64 v[0:1], v[2:3], v[0:1]
	s_waitcnt vmcnt(0)
	v_fmac_f64_e32 v[0:1], v[4:5], v[8:9]
	global_store_dwordx2 v[6:7], v[0:1], off
.LBB38_30:
	s_endpgm
	.section	.rodata,"a",@progbits
	.p2align	6, 0x0
	.amdhsa_kernel _ZN9rocsparseL17sddmm_coox_kernelILi512ELi2ELb0EdlldddEEv20rocsparse_operation_S1_16rocsparse_order_S2_T4_S3_S3_T3_NS_24const_host_device_scalarIT2_EEPKT5_lPKT6_lS7_PT7_PKS4_SH_21rocsparse_index_base_b
		.amdhsa_group_segment_fixed_size 4096
		.amdhsa_private_segment_fixed_size 0
		.amdhsa_kernarg_size 128
		.amdhsa_user_sgpr_count 6
		.amdhsa_user_sgpr_private_segment_buffer 1
		.amdhsa_user_sgpr_dispatch_ptr 0
		.amdhsa_user_sgpr_queue_ptr 0
		.amdhsa_user_sgpr_kernarg_segment_ptr 1
		.amdhsa_user_sgpr_dispatch_id 0
		.amdhsa_user_sgpr_flat_scratch_init 0
		.amdhsa_user_sgpr_kernarg_preload_length 0
		.amdhsa_user_sgpr_kernarg_preload_offset 0
		.amdhsa_user_sgpr_private_segment_size 0
		.amdhsa_uses_dynamic_stack 0
		.amdhsa_system_sgpr_private_segment_wavefront_offset 0
		.amdhsa_system_sgpr_workgroup_id_x 1
		.amdhsa_system_sgpr_workgroup_id_y 0
		.amdhsa_system_sgpr_workgroup_id_z 0
		.amdhsa_system_sgpr_workgroup_info 0
		.amdhsa_system_vgpr_workitem_id 0
		.amdhsa_next_free_vgpr 24
		.amdhsa_next_free_sgpr 24
		.amdhsa_accum_offset 24
		.amdhsa_reserve_vcc 1
		.amdhsa_reserve_flat_scratch 0
		.amdhsa_float_round_mode_32 0
		.amdhsa_float_round_mode_16_64 0
		.amdhsa_float_denorm_mode_32 3
		.amdhsa_float_denorm_mode_16_64 3
		.amdhsa_dx10_clamp 1
		.amdhsa_ieee_mode 1
		.amdhsa_fp16_overflow 0
		.amdhsa_tg_split 0
		.amdhsa_exception_fp_ieee_invalid_op 0
		.amdhsa_exception_fp_denorm_src 0
		.amdhsa_exception_fp_ieee_div_zero 0
		.amdhsa_exception_fp_ieee_overflow 0
		.amdhsa_exception_fp_ieee_underflow 0
		.amdhsa_exception_fp_ieee_inexact 0
		.amdhsa_exception_int_div_zero 0
	.end_amdhsa_kernel
	.section	.text._ZN9rocsparseL17sddmm_coox_kernelILi512ELi2ELb0EdlldddEEv20rocsparse_operation_S1_16rocsparse_order_S2_T4_S3_S3_T3_NS_24const_host_device_scalarIT2_EEPKT5_lPKT6_lS7_PT7_PKS4_SH_21rocsparse_index_base_b,"axG",@progbits,_ZN9rocsparseL17sddmm_coox_kernelILi512ELi2ELb0EdlldddEEv20rocsparse_operation_S1_16rocsparse_order_S2_T4_S3_S3_T3_NS_24const_host_device_scalarIT2_EEPKT5_lPKT6_lS7_PT7_PKS4_SH_21rocsparse_index_base_b,comdat
.Lfunc_end38:
	.size	_ZN9rocsparseL17sddmm_coox_kernelILi512ELi2ELb0EdlldddEEv20rocsparse_operation_S1_16rocsparse_order_S2_T4_S3_S3_T3_NS_24const_host_device_scalarIT2_EEPKT5_lPKT6_lS7_PT7_PKS4_SH_21rocsparse_index_base_b, .Lfunc_end38-_ZN9rocsparseL17sddmm_coox_kernelILi512ELi2ELb0EdlldddEEv20rocsparse_operation_S1_16rocsparse_order_S2_T4_S3_S3_T3_NS_24const_host_device_scalarIT2_EEPKT5_lPKT6_lS7_PT7_PKS4_SH_21rocsparse_index_base_b
                                        ; -- End function
	.section	.AMDGPU.csdata,"",@progbits
; Kernel info:
; codeLenInByte = 1012
; NumSgprs: 28
; NumVgprs: 24
; NumAgprs: 0
; TotalNumVgprs: 24
; ScratchSize: 0
; MemoryBound: 0
; FloatMode: 240
; IeeeMode: 1
; LDSByteSize: 4096 bytes/workgroup (compile time only)
; SGPRBlocks: 3
; VGPRBlocks: 2
; NumSGPRsForWavesPerEU: 28
; NumVGPRsForWavesPerEU: 24
; AccumOffset: 24
; Occupancy: 8
; WaveLimiterHint : 0
; COMPUTE_PGM_RSRC2:SCRATCH_EN: 0
; COMPUTE_PGM_RSRC2:USER_SGPR: 6
; COMPUTE_PGM_RSRC2:TRAP_HANDLER: 0
; COMPUTE_PGM_RSRC2:TGID_X_EN: 1
; COMPUTE_PGM_RSRC2:TGID_Y_EN: 0
; COMPUTE_PGM_RSRC2:TGID_Z_EN: 0
; COMPUTE_PGM_RSRC2:TIDIG_COMP_CNT: 0
; COMPUTE_PGM_RSRC3_GFX90A:ACCUM_OFFSET: 5
; COMPUTE_PGM_RSRC3_GFX90A:TG_SPLIT: 0
	.section	.text._ZN9rocsparseL17sddmm_coox_kernelILi512ELi1ELb0EdlldddEEv20rocsparse_operation_S1_16rocsparse_order_S2_T4_S3_S3_T3_NS_24const_host_device_scalarIT2_EEPKT5_lPKT6_lS7_PT7_PKS4_SH_21rocsparse_index_base_b,"axG",@progbits,_ZN9rocsparseL17sddmm_coox_kernelILi512ELi1ELb0EdlldddEEv20rocsparse_operation_S1_16rocsparse_order_S2_T4_S3_S3_T3_NS_24const_host_device_scalarIT2_EEPKT5_lPKT6_lS7_PT7_PKS4_SH_21rocsparse_index_base_b,comdat
	.globl	_ZN9rocsparseL17sddmm_coox_kernelILi512ELi1ELb0EdlldddEEv20rocsparse_operation_S1_16rocsparse_order_S2_T4_S3_S3_T3_NS_24const_host_device_scalarIT2_EEPKT5_lPKT6_lS7_PT7_PKS4_SH_21rocsparse_index_base_b ; -- Begin function _ZN9rocsparseL17sddmm_coox_kernelILi512ELi1ELb0EdlldddEEv20rocsparse_operation_S1_16rocsparse_order_S2_T4_S3_S3_T3_NS_24const_host_device_scalarIT2_EEPKT5_lPKT6_lS7_PT7_PKS4_SH_21rocsparse_index_base_b
	.p2align	8
	.type	_ZN9rocsparseL17sddmm_coox_kernelILi512ELi1ELb0EdlldddEEv20rocsparse_operation_S1_16rocsparse_order_S2_T4_S3_S3_T3_NS_24const_host_device_scalarIT2_EEPKT5_lPKT6_lS7_PT7_PKS4_SH_21rocsparse_index_base_b,@function
_ZN9rocsparseL17sddmm_coox_kernelILi512ELi1ELb0EdlldddEEv20rocsparse_operation_S1_16rocsparse_order_S2_T4_S3_S3_T3_NS_24const_host_device_scalarIT2_EEPKT5_lPKT6_lS7_PT7_PKS4_SH_21rocsparse_index_base_b: ; @_ZN9rocsparseL17sddmm_coox_kernelILi512ELi1ELb0EdlldddEEv20rocsparse_operation_S1_16rocsparse_order_S2_T4_S3_S3_T3_NS_24const_host_device_scalarIT2_EEPKT5_lPKT6_lS7_PT7_PKS4_SH_21rocsparse_index_base_b
; %bb.0:
	s_load_dwordx2 s[16:17], s[4:5], 0x78
	s_load_dwordx2 s[2:3], s[4:5], 0x30
	s_load_dwordx4 s[8:11], s[4:5], 0x50
	s_waitcnt lgkmcnt(0)
	s_bitcmp1_b32 s17, 0
	s_cselect_b64 s[12:13], -1, 0
	s_xor_b64 s[0:1], s[12:13], -1
	s_and_b64 vcc, exec, s[12:13]
	v_pk_mov_b32 v[2:3], s[2:3], s[2:3] op_sel:[0,1]
	s_cbranch_vccnz .LBB39_2
; %bb.1:
	v_pk_mov_b32 v[2:3], s[2:3], s[2:3] op_sel:[0,1]
	flat_load_dwordx2 v[2:3], v[2:3]
.LBB39_2:
	s_andn2_b64 vcc, exec, s[0:1]
	v_pk_mov_b32 v[4:5], s[10:11], s[10:11] op_sel:[0,1]
	s_cbranch_vccnz .LBB39_4
; %bb.3:
	v_pk_mov_b32 v[4:5], s[10:11], s[10:11] op_sel:[0,1]
	flat_load_dwordx2 v[4:5], v[4:5]
.LBB39_4:
	s_waitcnt vmcnt(0) lgkmcnt(0)
	v_cmp_neq_f64_e32 vcc, 0, v[2:3]
	v_cmp_neq_f64_e64 s[0:1], 1.0, v[4:5]
	s_or_b64 s[0:1], vcc, s[0:1]
	s_and_saveexec_b64 s[2:3], s[0:1]
	s_cbranch_execz .LBB39_27
; %bb.5:
	s_load_dwordx4 s[0:3], s[4:5], 0x20
	v_lshl_or_b32 v6, s6, 9, v0
	v_mov_b32_e32 v7, 0
	s_waitcnt lgkmcnt(0)
	v_cmp_gt_i64_e32 vcc, s[2:3], v[6:7]
	s_and_b64 exec, exec, vcc
	s_cbranch_execz .LBB39_27
; %bb.6:
	s_load_dwordx4 s[12:15], s[4:5], 0x68
	v_lshlrev_b64 v[6:7], 3, v[6:7]
	s_mov_b32 s17, 0
	s_waitcnt lgkmcnt(0)
	v_mov_b32_e32 v1, s13
	v_add_co_u32_e32 v8, vcc, s12, v6
	v_addc_co_u32_e32 v9, vcc, v1, v7, vcc
	global_load_dwordx2 v[8:9], v[8:9], off
	v_mov_b32_e32 v1, s15
	v_add_co_u32_e32 v10, vcc, s14, v6
	v_addc_co_u32_e32 v11, vcc, v1, v7, vcc
	global_load_dwordx2 v[10:11], v[10:11], off
	s_load_dwordx4 s[12:15], s[4:5], 0x0
	s_load_dwordx2 s[2:3], s[4:5], 0x40
	s_waitcnt lgkmcnt(0)
	s_cmp_eq_u32 s14, 1
	s_cselect_b64 s[6:7], -1, 0
	s_cmpk_eq_i32 s12, 0x6f
	s_cselect_b64 s[10:11], -1, 0
	s_cmpk_lg_i32 s12, 0x6f
	s_cselect_b64 s[18:19], -1, 0
	s_cmp_lg_u32 s14, 1
	s_waitcnt vmcnt(1)
	v_subrev_co_u32_e32 v12, vcc, s16, v8
	v_subbrev_co_u32_e32 v13, vcc, 0, v9, vcc
	s_cbranch_scc0 .LBB39_10
; %bb.7:
	s_andn2_b64 vcc, exec, s[10:11]
	v_pk_mov_b32 v[8:9], v[12:13], v[12:13] op_sel:[0,1]
	s_cbranch_vccnz .LBB39_9
; %bb.8:
	v_mul_lo_u32 v1, v13, s2
	v_mul_lo_u32 v14, v12, s3
	v_mad_u64_u32 v[8:9], s[20:21], v12, s2, 0
	v_add3_u32 v9, v9, v14, v1
.LBB39_9:
	s_cbranch_execz .LBB39_11
	s_branch .LBB39_14
.LBB39_10:
                                        ; implicit-def: $vgpr8_vgpr9
.LBB39_11:
	s_andn2_b64 vcc, exec, s[18:19]
	s_cbranch_vccnz .LBB39_13
; %bb.12:
	v_mul_lo_u32 v1, v13, s2
	v_mul_lo_u32 v8, v12, s3
	v_mad_u64_u32 v[12:13], s[18:19], v12, s2, 0
	v_add3_u32 v13, v13, v8, v1
.LBB39_13:
	v_pk_mov_b32 v[8:9], v[12:13], v[12:13] op_sel:[0,1]
.LBB39_14:
	s_cmp_eq_u32 s15, 1
	s_cselect_b64 s[18:19], -1, 0
	s_cmpk_eq_i32 s13, 0x6f
	v_mov_b32_e32 v1, s17
	s_cselect_b64 s[20:21], -1, 0
	s_cmpk_lg_i32 s13, 0x6f
	s_waitcnt vmcnt(0)
	v_subrev_co_u32_e32 v10, vcc, s16, v10
	s_cselect_b64 s[12:13], -1, 0
	s_cmp_lg_u32 s15, 1
	v_subb_co_u32_e32 v11, vcc, v11, v1, vcc
	s_cbranch_scc0 .LBB39_21
; %bb.15:
	s_andn2_b64 vcc, exec, s[12:13]
	v_pk_mov_b32 v[12:13], v[10:11], v[10:11] op_sel:[0,1]
	s_cbranch_vccnz .LBB39_17
; %bb.16:
	v_mul_lo_u32 v1, v11, s8
	v_mul_lo_u32 v14, v10, s9
	v_mad_u64_u32 v[12:13], s[12:13], v10, s8, 0
	v_add3_u32 v13, v13, v14, v1
.LBB39_17:
	s_cbranch_execz .LBB39_22
; %bb.18:
	s_load_dwordx2 s[12:13], s[4:5], 0x60
	v_cmp_lt_i64_e64 s[14:15], s[0:1], 1
	s_and_b64 vcc, exec, s[14:15]
	s_cbranch_vccnz .LBB39_25
.LBB39_19:
	s_load_dwordx2 s[14:15], s[4:5], 0x48
	s_load_dwordx2 s[16:17], s[4:5], 0x38
	s_xor_b64 s[4:5], s[10:11], s[6:7]
	s_and_b64 s[4:5], s[4:5], exec
	v_lshlrev_b64 v[10:11], 3, v[12:13]
	s_cselect_b32 s5, 0, s3
	s_cselect_b32 s4, 1, s2
	s_xor_b64 s[2:3], s[20:21], s[18:19]
	s_waitcnt lgkmcnt(0)
	v_mov_b32_e32 v1, s15
	v_add_co_u32_e32 v10, vcc, s14, v10
	s_and_b64 s[2:3], s[2:3], exec
	v_addc_co_u32_e32 v11, vcc, v1, v11, vcc
	v_lshlrev_b64 v[8:9], 3, v[8:9]
	s_cselect_b32 s3, s9, 0
	s_cselect_b32 s2, s8, 1
	v_mov_b32_e32 v1, s17
	v_add_co_u32_e32 v8, vcc, s16, v8
	s_lshl_b64 s[2:3], s[2:3], 3
	s_lshl_b64 s[4:5], s[4:5], 3
	v_addc_co_u32_e32 v9, vcc, v1, v9, vcc
	v_pk_mov_b32 v[12:13], 0, 0
	v_mov_b32_e32 v1, s3
	v_mov_b32_e32 v14, s5
.LBB39_20:                              ; =>This Inner Loop Header: Depth=1
	global_load_dwordx2 v[16:17], v[8:9], off
	global_load_dwordx2 v[18:19], v[10:11], off
	v_add_co_u32_e32 v10, vcc, s2, v10
	s_add_u32 s0, s0, -1
	v_addc_co_u32_e32 v11, vcc, v11, v1, vcc
	v_add_co_u32_e32 v8, vcc, s4, v8
	s_addc_u32 s1, s1, -1
	v_addc_co_u32_e32 v9, vcc, v9, v14, vcc
	s_cmp_eq_u64 s[0:1], 0
	s_waitcnt vmcnt(0)
	v_fmac_f64_e32 v[12:13], v[16:17], v[18:19]
	s_cbranch_scc0 .LBB39_20
	s_branch .LBB39_26
.LBB39_21:
                                        ; implicit-def: $vgpr12_vgpr13
.LBB39_22:
	s_andn2_b64 vcc, exec, s[20:21]
	s_cbranch_vccnz .LBB39_24
; %bb.23:
	v_mul_lo_u32 v1, v11, s8
	v_mul_lo_u32 v12, v10, s9
	v_mad_u64_u32 v[10:11], s[12:13], v10, s8, 0
	v_add3_u32 v11, v11, v12, v1
.LBB39_24:
	v_pk_mov_b32 v[12:13], v[10:11], v[10:11] op_sel:[0,1]
	s_load_dwordx2 s[12:13], s[4:5], 0x60
	v_cmp_lt_i64_e64 s[14:15], s[0:1], 1
	s_and_b64 vcc, exec, s[14:15]
	s_cbranch_vccz .LBB39_19
.LBB39_25:
	v_pk_mov_b32 v[12:13], 0, 0
.LBB39_26:
	v_lshlrev_b32_e32 v8, 3, v0
	s_waitcnt lgkmcnt(0)
	v_mov_b32_e32 v1, s13
	v_add_co_u32_e32 v0, vcc, s12, v6
	v_addc_co_u32_e32 v1, vcc, v1, v7, vcc
	ds_write_b64 v8, v[12:13]
	s_waitcnt lgkmcnt(0)
	s_barrier
	global_load_dwordx2 v[6:7], v[0:1], off
	ds_read_b64 v[8:9], v8
	s_waitcnt lgkmcnt(0)
	v_mul_f64 v[2:3], v[2:3], v[8:9]
	s_waitcnt vmcnt(0)
	v_fmac_f64_e32 v[2:3], v[4:5], v[6:7]
	global_store_dwordx2 v[0:1], v[2:3], off
.LBB39_27:
	s_endpgm
	.section	.rodata,"a",@progbits
	.p2align	6, 0x0
	.amdhsa_kernel _ZN9rocsparseL17sddmm_coox_kernelILi512ELi1ELb0EdlldddEEv20rocsparse_operation_S1_16rocsparse_order_S2_T4_S3_S3_T3_NS_24const_host_device_scalarIT2_EEPKT5_lPKT6_lS7_PT7_PKS4_SH_21rocsparse_index_base_b
		.amdhsa_group_segment_fixed_size 4096
		.amdhsa_private_segment_fixed_size 0
		.amdhsa_kernarg_size 128
		.amdhsa_user_sgpr_count 6
		.amdhsa_user_sgpr_private_segment_buffer 1
		.amdhsa_user_sgpr_dispatch_ptr 0
		.amdhsa_user_sgpr_queue_ptr 0
		.amdhsa_user_sgpr_kernarg_segment_ptr 1
		.amdhsa_user_sgpr_dispatch_id 0
		.amdhsa_user_sgpr_flat_scratch_init 0
		.amdhsa_user_sgpr_kernarg_preload_length 0
		.amdhsa_user_sgpr_kernarg_preload_offset 0
		.amdhsa_user_sgpr_private_segment_size 0
		.amdhsa_uses_dynamic_stack 0
		.amdhsa_system_sgpr_private_segment_wavefront_offset 0
		.amdhsa_system_sgpr_workgroup_id_x 1
		.amdhsa_system_sgpr_workgroup_id_y 0
		.amdhsa_system_sgpr_workgroup_id_z 0
		.amdhsa_system_sgpr_workgroup_info 0
		.amdhsa_system_vgpr_workitem_id 0
		.amdhsa_next_free_vgpr 20
		.amdhsa_next_free_sgpr 22
		.amdhsa_accum_offset 20
		.amdhsa_reserve_vcc 1
		.amdhsa_reserve_flat_scratch 0
		.amdhsa_float_round_mode_32 0
		.amdhsa_float_round_mode_16_64 0
		.amdhsa_float_denorm_mode_32 3
		.amdhsa_float_denorm_mode_16_64 3
		.amdhsa_dx10_clamp 1
		.amdhsa_ieee_mode 1
		.amdhsa_fp16_overflow 0
		.amdhsa_tg_split 0
		.amdhsa_exception_fp_ieee_invalid_op 0
		.amdhsa_exception_fp_denorm_src 0
		.amdhsa_exception_fp_ieee_div_zero 0
		.amdhsa_exception_fp_ieee_overflow 0
		.amdhsa_exception_fp_ieee_underflow 0
		.amdhsa_exception_fp_ieee_inexact 0
		.amdhsa_exception_int_div_zero 0
	.end_amdhsa_kernel
	.section	.text._ZN9rocsparseL17sddmm_coox_kernelILi512ELi1ELb0EdlldddEEv20rocsparse_operation_S1_16rocsparse_order_S2_T4_S3_S3_T3_NS_24const_host_device_scalarIT2_EEPKT5_lPKT6_lS7_PT7_PKS4_SH_21rocsparse_index_base_b,"axG",@progbits,_ZN9rocsparseL17sddmm_coox_kernelILi512ELi1ELb0EdlldddEEv20rocsparse_operation_S1_16rocsparse_order_S2_T4_S3_S3_T3_NS_24const_host_device_scalarIT2_EEPKT5_lPKT6_lS7_PT7_PKS4_SH_21rocsparse_index_base_b,comdat
.Lfunc_end39:
	.size	_ZN9rocsparseL17sddmm_coox_kernelILi512ELi1ELb0EdlldddEEv20rocsparse_operation_S1_16rocsparse_order_S2_T4_S3_S3_T3_NS_24const_host_device_scalarIT2_EEPKT5_lPKT6_lS7_PT7_PKS4_SH_21rocsparse_index_base_b, .Lfunc_end39-_ZN9rocsparseL17sddmm_coox_kernelILi512ELi1ELb0EdlldddEEv20rocsparse_operation_S1_16rocsparse_order_S2_T4_S3_S3_T3_NS_24const_host_device_scalarIT2_EEPKT5_lPKT6_lS7_PT7_PKS4_SH_21rocsparse_index_base_b
                                        ; -- End function
	.section	.AMDGPU.csdata,"",@progbits
; Kernel info:
; codeLenInByte = 864
; NumSgprs: 26
; NumVgprs: 20
; NumAgprs: 0
; TotalNumVgprs: 20
; ScratchSize: 0
; MemoryBound: 0
; FloatMode: 240
; IeeeMode: 1
; LDSByteSize: 4096 bytes/workgroup (compile time only)
; SGPRBlocks: 3
; VGPRBlocks: 2
; NumSGPRsForWavesPerEU: 26
; NumVGPRsForWavesPerEU: 20
; AccumOffset: 20
; Occupancy: 8
; WaveLimiterHint : 0
; COMPUTE_PGM_RSRC2:SCRATCH_EN: 0
; COMPUTE_PGM_RSRC2:USER_SGPR: 6
; COMPUTE_PGM_RSRC2:TRAP_HANDLER: 0
; COMPUTE_PGM_RSRC2:TGID_X_EN: 1
; COMPUTE_PGM_RSRC2:TGID_Y_EN: 0
; COMPUTE_PGM_RSRC2:TGID_Z_EN: 0
; COMPUTE_PGM_RSRC2:TIDIG_COMP_CNT: 0
; COMPUTE_PGM_RSRC3_GFX90A:ACCUM_OFFSET: 4
; COMPUTE_PGM_RSRC3_GFX90A:TG_SPLIT: 0
	.section	.text._ZN9rocsparseL24sddmm_coox_sample_kernelILi512ELb0E21rocsparse_complex_numIfEllS2_EEvT3_S3_T2_PKT4_S3_PS5_PKS4_SA_21rocsparse_index_base_,"axG",@progbits,_ZN9rocsparseL24sddmm_coox_sample_kernelILi512ELb0E21rocsparse_complex_numIfEllS2_EEvT3_S3_T2_PKT4_S3_PS5_PKS4_SA_21rocsparse_index_base_,comdat
	.globl	_ZN9rocsparseL24sddmm_coox_sample_kernelILi512ELb0E21rocsparse_complex_numIfEllS2_EEvT3_S3_T2_PKT4_S3_PS5_PKS4_SA_21rocsparse_index_base_ ; -- Begin function _ZN9rocsparseL24sddmm_coox_sample_kernelILi512ELb0E21rocsparse_complex_numIfEllS2_EEvT3_S3_T2_PKT4_S3_PS5_PKS4_SA_21rocsparse_index_base_
	.p2align	8
	.type	_ZN9rocsparseL24sddmm_coox_sample_kernelILi512ELb0E21rocsparse_complex_numIfEllS2_EEvT3_S3_T2_PKT4_S3_PS5_PKS4_SA_21rocsparse_index_base_,@function
_ZN9rocsparseL24sddmm_coox_sample_kernelILi512ELb0E21rocsparse_complex_numIfEllS2_EEvT3_S3_T2_PKT4_S3_PS5_PKS4_SA_21rocsparse_index_base_: ; @_ZN9rocsparseL24sddmm_coox_sample_kernelILi512ELb0E21rocsparse_complex_numIfEllS2_EEvT3_S3_T2_PKT4_S3_PS5_PKS4_SA_21rocsparse_index_base_
; %bb.0:
	s_load_dwordx2 s[2:3], s[4:5], 0x10
	v_lshl_or_b32 v0, s6, 9, v0
	v_mov_b32_e32 v1, 0
	s_waitcnt lgkmcnt(0)
	v_cmp_gt_i64_e32 vcc, s[2:3], v[0:1]
	s_and_saveexec_b64 s[0:1], vcc
	s_cbranch_execz .LBB40_3
; %bb.1:
	s_load_dword s0, s[4:5], 0x48
	s_load_dwordx2 s[6:7], s[4:5], 0x38
	s_load_dword s16, s[4:5], 0x40
	s_load_dwordx8 s[8:15], s[4:5], 0x18
	s_mov_b32 s1, 0
	s_waitcnt lgkmcnt(0)
	s_lshl_b32 s17, s0, 9
	v_pk_mov_b32 v[2:3], v[0:1], v[0:1] op_sel:[0,1]
	v_add_u32_e32 v0, s17, v0
	s_mov_b64 s[4:5], 0
	v_mov_b32_e32 v4, s15
	v_mov_b32_e32 v5, s1
	;; [unrolled: 1-line block ×5, first 2 shown]
.LBB40_2:                               ; =>This Inner Loop Header: Depth=1
	v_lshlrev_b64 v[10:11], 3, v[2:3]
	v_add_co_u32_e32 v2, vcc, s14, v10
	v_addc_co_u32_e32 v3, vcc, v4, v11, vcc
	v_add_co_u32_e32 v12, vcc, s6, v10
	v_addc_co_u32_e32 v13, vcc, v6, v11, vcc
	global_load_dwordx2 v[14:15], v[12:13], off
	global_load_dwordx2 v[16:17], v[2:3], off
	s_waitcnt vmcnt(0)
	v_subrev_co_u32_e32 v2, vcc, s16, v16
	v_subb_co_u32_e32 v3, vcc, v17, v5, vcc
	v_subrev_co_u32_e32 v9, vcc, s16, v14
	v_subb_co_u32_e32 v12, vcc, v15, v5, vcc
	v_mul_lo_u32 v14, v12, s10
	v_mul_lo_u32 v15, v9, s11
	v_mad_u64_u32 v[12:13], s[0:1], v9, s10, 0
	v_add3_u32 v13, v13, v15, v14
	v_lshlrev_b64 v[12:13], 3, v[12:13]
	v_add_co_u32_e32 v9, vcc, s8, v12
	v_lshlrev_b64 v[2:3], 3, v[2:3]
	v_addc_co_u32_e32 v12, vcc, v7, v13, vcc
	v_add_co_u32_e32 v2, vcc, v9, v2
	v_addc_co_u32_e32 v3, vcc, v12, v3, vcc
	global_load_dwordx2 v[12:13], v[2:3], off
	v_cmp_le_u64_e32 vcc, s[2:3], v[0:1]
	v_add_co_u32_e64 v10, s[0:1], s12, v10
	v_pk_mov_b32 v[2:3], v[0:1], v[0:1] op_sel:[0,1]
	v_add_u32_e32 v0, s17, v0
	v_addc_co_u32_e64 v11, s[0:1], v8, v11, s[0:1]
	s_or_b64 s[4:5], vcc, s[4:5]
	s_waitcnt vmcnt(0)
	global_store_dwordx2 v[10:11], v[12:13], off
	s_andn2_b64 exec, exec, s[4:5]
	s_cbranch_execnz .LBB40_2
.LBB40_3:
	s_endpgm
	.section	.rodata,"a",@progbits
	.p2align	6, 0x0
	.amdhsa_kernel _ZN9rocsparseL24sddmm_coox_sample_kernelILi512ELb0E21rocsparse_complex_numIfEllS2_EEvT3_S3_T2_PKT4_S3_PS5_PKS4_SA_21rocsparse_index_base_
		.amdhsa_group_segment_fixed_size 0
		.amdhsa_private_segment_fixed_size 0
		.amdhsa_kernarg_size 328
		.amdhsa_user_sgpr_count 6
		.amdhsa_user_sgpr_private_segment_buffer 1
		.amdhsa_user_sgpr_dispatch_ptr 0
		.amdhsa_user_sgpr_queue_ptr 0
		.amdhsa_user_sgpr_kernarg_segment_ptr 1
		.amdhsa_user_sgpr_dispatch_id 0
		.amdhsa_user_sgpr_flat_scratch_init 0
		.amdhsa_user_sgpr_kernarg_preload_length 0
		.amdhsa_user_sgpr_kernarg_preload_offset 0
		.amdhsa_user_sgpr_private_segment_size 0
		.amdhsa_uses_dynamic_stack 0
		.amdhsa_system_sgpr_private_segment_wavefront_offset 0
		.amdhsa_system_sgpr_workgroup_id_x 1
		.amdhsa_system_sgpr_workgroup_id_y 0
		.amdhsa_system_sgpr_workgroup_id_z 0
		.amdhsa_system_sgpr_workgroup_info 0
		.amdhsa_system_vgpr_workitem_id 0
		.amdhsa_next_free_vgpr 18
		.amdhsa_next_free_sgpr 18
		.amdhsa_accum_offset 20
		.amdhsa_reserve_vcc 1
		.amdhsa_reserve_flat_scratch 0
		.amdhsa_float_round_mode_32 0
		.amdhsa_float_round_mode_16_64 0
		.amdhsa_float_denorm_mode_32 3
		.amdhsa_float_denorm_mode_16_64 3
		.amdhsa_dx10_clamp 1
		.amdhsa_ieee_mode 1
		.amdhsa_fp16_overflow 0
		.amdhsa_tg_split 0
		.amdhsa_exception_fp_ieee_invalid_op 0
		.amdhsa_exception_fp_denorm_src 0
		.amdhsa_exception_fp_ieee_div_zero 0
		.amdhsa_exception_fp_ieee_overflow 0
		.amdhsa_exception_fp_ieee_underflow 0
		.amdhsa_exception_fp_ieee_inexact 0
		.amdhsa_exception_int_div_zero 0
	.end_amdhsa_kernel
	.section	.text._ZN9rocsparseL24sddmm_coox_sample_kernelILi512ELb0E21rocsparse_complex_numIfEllS2_EEvT3_S3_T2_PKT4_S3_PS5_PKS4_SA_21rocsparse_index_base_,"axG",@progbits,_ZN9rocsparseL24sddmm_coox_sample_kernelILi512ELb0E21rocsparse_complex_numIfEllS2_EEvT3_S3_T2_PKT4_S3_PS5_PKS4_SA_21rocsparse_index_base_,comdat
.Lfunc_end40:
	.size	_ZN9rocsparseL24sddmm_coox_sample_kernelILi512ELb0E21rocsparse_complex_numIfEllS2_EEvT3_S3_T2_PKT4_S3_PS5_PKS4_SA_21rocsparse_index_base_, .Lfunc_end40-_ZN9rocsparseL24sddmm_coox_sample_kernelILi512ELb0E21rocsparse_complex_numIfEllS2_EEvT3_S3_T2_PKT4_S3_PS5_PKS4_SA_21rocsparse_index_base_
                                        ; -- End function
	.section	.AMDGPU.csdata,"",@progbits
; Kernel info:
; codeLenInByte = 308
; NumSgprs: 22
; NumVgprs: 18
; NumAgprs: 0
; TotalNumVgprs: 18
; ScratchSize: 0
; MemoryBound: 0
; FloatMode: 240
; IeeeMode: 1
; LDSByteSize: 0 bytes/workgroup (compile time only)
; SGPRBlocks: 2
; VGPRBlocks: 2
; NumSGPRsForWavesPerEU: 22
; NumVGPRsForWavesPerEU: 18
; AccumOffset: 20
; Occupancy: 8
; WaveLimiterHint : 1
; COMPUTE_PGM_RSRC2:SCRATCH_EN: 0
; COMPUTE_PGM_RSRC2:USER_SGPR: 6
; COMPUTE_PGM_RSRC2:TRAP_HANDLER: 0
; COMPUTE_PGM_RSRC2:TGID_X_EN: 1
; COMPUTE_PGM_RSRC2:TGID_Y_EN: 0
; COMPUTE_PGM_RSRC2:TGID_Z_EN: 0
; COMPUTE_PGM_RSRC2:TIDIG_COMP_CNT: 0
; COMPUTE_PGM_RSRC3_GFX90A:ACCUM_OFFSET: 4
; COMPUTE_PGM_RSRC3_GFX90A:TG_SPLIT: 0
	.section	.text._ZN9rocsparseL17sddmm_coox_kernelILi512ELi8ELb0E21rocsparse_complex_numIfEllS2_S2_S2_EEv20rocsparse_operation_S3_16rocsparse_order_S4_T4_S5_S5_T3_NS_24const_host_device_scalarIT2_EEPKT5_lPKT6_lS9_PT7_PKS6_SJ_21rocsparse_index_base_b,"axG",@progbits,_ZN9rocsparseL17sddmm_coox_kernelILi512ELi8ELb0E21rocsparse_complex_numIfEllS2_S2_S2_EEv20rocsparse_operation_S3_16rocsparse_order_S4_T4_S5_S5_T3_NS_24const_host_device_scalarIT2_EEPKT5_lPKT6_lS9_PT7_PKS6_SJ_21rocsparse_index_base_b,comdat
	.globl	_ZN9rocsparseL17sddmm_coox_kernelILi512ELi8ELb0E21rocsparse_complex_numIfEllS2_S2_S2_EEv20rocsparse_operation_S3_16rocsparse_order_S4_T4_S5_S5_T3_NS_24const_host_device_scalarIT2_EEPKT5_lPKT6_lS9_PT7_PKS6_SJ_21rocsparse_index_base_b ; -- Begin function _ZN9rocsparseL17sddmm_coox_kernelILi512ELi8ELb0E21rocsparse_complex_numIfEllS2_S2_S2_EEv20rocsparse_operation_S3_16rocsparse_order_S4_T4_S5_S5_T3_NS_24const_host_device_scalarIT2_EEPKT5_lPKT6_lS9_PT7_PKS6_SJ_21rocsparse_index_base_b
	.p2align	8
	.type	_ZN9rocsparseL17sddmm_coox_kernelILi512ELi8ELb0E21rocsparse_complex_numIfEllS2_S2_S2_EEv20rocsparse_operation_S3_16rocsparse_order_S4_T4_S5_S5_T3_NS_24const_host_device_scalarIT2_EEPKT5_lPKT6_lS9_PT7_PKS6_SJ_21rocsparse_index_base_b,@function
_ZN9rocsparseL17sddmm_coox_kernelILi512ELi8ELb0E21rocsparse_complex_numIfEllS2_S2_S2_EEv20rocsparse_operation_S3_16rocsparse_order_S4_T4_S5_S5_T3_NS_24const_host_device_scalarIT2_EEPKT5_lPKT6_lS9_PT7_PKS6_SJ_21rocsparse_index_base_b: ; @_ZN9rocsparseL17sddmm_coox_kernelILi512ELi8ELb0E21rocsparse_complex_numIfEllS2_S2_S2_EEv20rocsparse_operation_S3_16rocsparse_order_S4_T4_S5_S5_T3_NS_24const_host_device_scalarIT2_EEPKT5_lPKT6_lS9_PT7_PKS6_SJ_21rocsparse_index_base_b
; %bb.0:
	s_load_dwordx2 s[16:17], s[4:5], 0x78
	s_load_dwordx2 s[2:3], s[4:5], 0x30
	s_waitcnt lgkmcnt(0)
	s_bitcmp1_b32 s17, 0
	s_cselect_b64 s[0:1], -1, 0
	s_xor_b64 s[12:13], s[0:1], -1
	s_and_b64 vcc, exec, s[0:1]
	v_mov_b32_e32 v1, s2
	s_cbranch_vccnz .LBB41_2
; %bb.1:
	v_pk_mov_b32 v[2:3], s[2:3], s[2:3] op_sel:[0,1]
	flat_load_dword v1, v[2:3]
.LBB41_2:
	s_load_dwordx4 s[8:11], s[4:5], 0x50
	v_cndmask_b32_e64 v2, 0, 1, s[12:13]
	v_cmp_ne_u32_e64 s[0:1], 1, v2
	s_andn2_b64 vcc, exec, s[12:13]
	v_mov_b32_e32 v3, s3
	s_cbranch_vccz .LBB41_14
; %bb.3:
	s_and_b64 vcc, exec, s[0:1]
	s_waitcnt lgkmcnt(0)
	v_mov_b32_e32 v4, s10
	s_cbranch_vccz .LBB41_15
.LBB41_4:
	s_and_b64 vcc, exec, s[0:1]
	v_mov_b32_e32 v6, s11
	s_cbranch_vccnz .LBB41_6
.LBB41_5:
	v_pk_mov_b32 v[6:7], s[10:11], s[10:11] op_sel:[0,1]
	flat_load_dword v6, v[6:7] offset:4
.LBB41_6:
	s_waitcnt vmcnt(0)
	v_or_b32_e32 v2, v1, v3
	v_and_b32_e32 v2, 0x7fffffff, v2
	v_cmp_eq_u32_e32 vcc, 0, v2
	s_mov_b64 s[0:1], -1
	s_and_saveexec_b64 s[2:3], vcc
	s_cbranch_execz .LBB41_8
; %bb.7:
	s_waitcnt lgkmcnt(0)
	v_cmp_neq_f32_e32 vcc, 1.0, v4
	v_cmp_neq_f32_e64 s[0:1], 0, v6
	s_or_b64 s[0:1], vcc, s[0:1]
	s_orn2_b64 s[0:1], s[0:1], exec
.LBB41_8:
	s_or_b64 exec, exec, s[2:3]
	s_and_saveexec_b64 s[2:3], s[0:1]
	s_cbranch_execz .LBB41_40
; %bb.9:
	s_load_dwordx4 s[0:3], s[4:5], 0x20
	v_lshrrev_b32_e32 v2, 3, v0
	v_lshl_or_b32 v8, s6, 6, v2
	v_mov_b32_e32 v9, 0
	s_waitcnt lgkmcnt(0)
	v_cmp_gt_i64_e32 vcc, s[2:3], v[8:9]
	s_and_b64 exec, exec, vcc
	s_cbranch_execz .LBB41_40
; %bb.10:
	s_load_dwordx4 s[12:15], s[4:5], 0x68
	v_lshlrev_b64 v[8:9], 3, v[8:9]
	s_mov_b32 s17, 0
	s_waitcnt lgkmcnt(0)
	v_mov_b32_e32 v5, s13
	v_add_co_u32_e32 v10, vcc, s12, v8
	v_addc_co_u32_e32 v11, vcc, v5, v9, vcc
	global_load_dwordx2 v[12:13], v[10:11], off
	v_mov_b32_e32 v5, s15
	v_add_co_u32_e32 v10, vcc, s14, v8
	v_addc_co_u32_e32 v11, vcc, v5, v9, vcc
	global_load_dwordx2 v[10:11], v[10:11], off
	s_load_dwordx4 s[12:15], s[4:5], 0x0
	s_load_dwordx2 s[6:7], s[4:5], 0x40
	s_waitcnt lgkmcnt(0)
	s_cmp_eq_u32 s14, 1
	s_cselect_b64 s[10:11], -1, 0
	s_cmpk_eq_i32 s12, 0x6f
	s_cselect_b64 s[18:19], -1, 0
	s_cmpk_lg_i32 s12, 0x6f
	s_cselect_b64 s[2:3], -1, 0
	s_cmp_lg_u32 s14, 1
	s_waitcnt vmcnt(1)
	v_subrev_co_u32_e32 v14, vcc, s16, v12
	v_subbrev_co_u32_e32 v15, vcc, 0, v13, vcc
	s_cbranch_scc0 .LBB41_16
; %bb.11:
	s_andn2_b64 vcc, exec, s[18:19]
	v_pk_mov_b32 v[12:13], v[14:15], v[14:15] op_sel:[0,1]
	s_cbranch_vccnz .LBB41_13
; %bb.12:
	v_mul_lo_u32 v5, v15, s6
	v_mul_lo_u32 v7, v14, s7
	v_mad_u64_u32 v[12:13], s[20:21], v14, s6, 0
	v_add3_u32 v13, v13, v7, v5
.LBB41_13:
	s_cbranch_execz .LBB41_17
	s_branch .LBB41_20
.LBB41_14:
	v_pk_mov_b32 v[2:3], s[2:3], s[2:3] op_sel:[0,1]
	flat_load_dword v3, v[2:3] offset:4
	s_and_b64 vcc, exec, s[0:1]
	s_waitcnt lgkmcnt(0)
	v_mov_b32_e32 v4, s10
	s_cbranch_vccnz .LBB41_4
.LBB41_15:
	v_pk_mov_b32 v[4:5], s[10:11], s[10:11] op_sel:[0,1]
	flat_load_dword v4, v[4:5]
	s_and_b64 vcc, exec, s[0:1]
	v_mov_b32_e32 v6, s11
	s_cbranch_vccz .LBB41_5
	s_branch .LBB41_6
.LBB41_16:
                                        ; implicit-def: $vgpr12_vgpr13
.LBB41_17:
	s_andn2_b64 vcc, exec, s[2:3]
	s_cbranch_vccnz .LBB41_19
; %bb.18:
	v_mul_lo_u32 v5, v15, s6
	v_mul_lo_u32 v7, v14, s7
	v_mad_u64_u32 v[14:15], s[2:3], v14, s6, 0
	v_add3_u32 v15, v15, v7, v5
.LBB41_19:
	v_pk_mov_b32 v[12:13], v[14:15], v[14:15] op_sel:[0,1]
.LBB41_20:
	s_cmp_eq_u32 s15, 1
	s_cselect_b64 s[20:21], -1, 0
	s_cmpk_eq_i32 s13, 0x6f
	v_mov_b32_e32 v5, s17
	s_cselect_b64 s[22:23], -1, 0
	s_cmpk_lg_i32 s13, 0x6f
	s_waitcnt vmcnt(0)
	v_subrev_co_u32_e32 v10, vcc, s16, v10
	s_cselect_b64 s[2:3], -1, 0
	s_cmp_lg_u32 s15, 1
	v_subb_co_u32_e32 v11, vcc, v11, v5, vcc
	s_cbranch_scc0 .LBB41_24
; %bb.21:
	s_andn2_b64 vcc, exec, s[2:3]
	v_pk_mov_b32 v[16:17], v[10:11], v[10:11] op_sel:[0,1]
	s_cbranch_vccnz .LBB41_23
; %bb.22:
	v_mul_lo_u32 v5, v11, s8
	v_mul_lo_u32 v7, v10, s9
	v_mad_u64_u32 v[16:17], s[2:3], v10, s8, 0
	v_add3_u32 v17, v17, v7, v5
.LBB41_23:
	s_cbranch_execz .LBB41_25
	s_branch .LBB41_28
.LBB41_24:
                                        ; implicit-def: $vgpr16_vgpr17
.LBB41_25:
	s_andn2_b64 vcc, exec, s[22:23]
	s_cbranch_vccnz .LBB41_27
; %bb.26:
	v_mul_lo_u32 v5, v11, s8
	v_mul_lo_u32 v7, v10, s9
	v_mad_u64_u32 v[10:11], s[2:3], v10, s8, 0
	v_add3_u32 v11, v11, v7, v5
.LBB41_27:
	v_pk_mov_b32 v[16:17], v[10:11], v[10:11] op_sel:[0,1]
.LBB41_28:
	s_load_dwordx2 s[2:3], s[4:5], 0x60
	v_and_b32_e32 v10, 7, v0
	v_mov_b32_e32 v11, 0
	v_cmp_gt_i64_e32 vcc, s[0:1], v[10:11]
	v_mov_b32_e32 v15, v11
	v_mov_b32_e32 v14, v11
	s_and_saveexec_b64 s[12:13], vcc
	s_cbranch_execz .LBB41_32
; %bb.29:
	s_load_dwordx2 s[14:15], s[4:5], 0x38
	s_load_dwordx2 s[16:17], s[4:5], 0x48
	s_xor_b64 s[4:5], s[18:19], s[10:11]
	s_and_b64 s[4:5], s[4:5], exec
	s_cselect_b32 s7, 0, s7
	s_cselect_b32 s6, 1, s6
	s_xor_b64 s[4:5], s[22:23], s[20:21]
	s_and_b64 s[4:5], s[4:5], exec
	s_cselect_b32 s4, s8, 1
	s_cselect_b32 s5, s9, 0
	v_mad_u64_u32 v[14:15], s[8:9], s4, v10, 0
	v_mov_b32_e32 v0, v15
	v_mad_u64_u32 v[18:19], s[8:9], s5, v10, v[0:1]
	v_mov_b32_e32 v15, v18
	v_lshlrev_b64 v[14:15], 3, v[14:15]
	v_lshlrev_b64 v[16:17], 3, v[16:17]
	v_add_co_u32_e32 v0, vcc, v14, v16
	v_addc_co_u32_e32 v5, vcc, v15, v17, vcc
	s_waitcnt lgkmcnt(0)
	v_mov_b32_e32 v7, s17
	v_add_co_u32_e32 v0, vcc, s16, v0
	v_addc_co_u32_e32 v5, vcc, v5, v7, vcc
	v_mad_u64_u32 v[14:15], s[8:9], s6, v10, 0
	v_add_co_u32_e32 v16, vcc, 4, v0
	v_mov_b32_e32 v0, v15
	v_mad_u64_u32 v[18:19], s[8:9], s7, v10, v[0:1]
	v_mov_b32_e32 v15, v18
	v_addc_co_u32_e32 v17, vcc, 0, v5, vcc
	v_lshlrev_b64 v[14:15], 3, v[14:15]
	v_lshlrev_b64 v[12:13], 3, v[12:13]
	v_add_co_u32_e32 v0, vcc, v14, v12
	v_addc_co_u32_e32 v5, vcc, v15, v13, vcc
	s_lshl_b64 s[4:5], s[4:5], 6
	v_mov_b32_e32 v7, s15
	v_add_co_u32_e32 v12, vcc, s14, v0
	s_lshl_b64 s[8:9], s[6:7], 6
	v_mov_b32_e32 v14, 0
	v_addc_co_u32_e32 v13, vcc, v7, v5, vcc
	s_mov_b64 s[6:7], 0
	v_mov_b32_e32 v0, s5
	v_mov_b32_e32 v5, s9
	v_pk_mov_b32 v[18:19], v[10:11], v[10:11] op_sel:[0,1]
	v_mov_b32_e32 v15, v14
.LBB41_30:                              ; =>This Inner Loop Header: Depth=1
	global_load_dwordx2 v[20:21], v[12:13], off
	global_load_dwordx2 v[22:23], v[16:17], off offset:-4
	v_add_co_u32_e32 v18, vcc, 8, v18
	v_addc_co_u32_e32 v19, vcc, 0, v19, vcc
	v_add_co_u32_e32 v16, vcc, s4, v16
	v_addc_co_u32_e32 v17, vcc, v17, v0, vcc
	;; [unrolled: 2-line block ×3, first 2 shown]
	v_cmp_le_i64_e32 vcc, s[0:1], v[18:19]
	s_or_b64 s[6:7], vcc, s[6:7]
	s_waitcnt vmcnt(0)
	v_pk_mul_f32 v[24:25], v[22:23], v[20:21] op_sel:[1,1] op_sel_hi:[1,0] neg_lo:[0,1]
	v_pk_fma_f32 v[20:21], v[20:21], v[22:23], v[24:25] op_sel_hi:[1,0,1]
	v_pk_add_f32 v[14:15], v[14:15], v[20:21]
	s_andn2_b64 exec, exec, s[6:7]
	s_cbranch_execnz .LBB41_30
; %bb.31:
	s_or_b64 exec, exec, s[6:7]
.LBB41_32:
	s_or_b64 exec, exec, s[12:13]
	v_lshlrev_b32_e32 v0, 3, v10
	v_lshl_or_b32 v0, v2, 6, v0
	v_cmp_gt_u32_e32 vcc, 4, v10
	ds_write_b64 v0, v[14:15]
	s_waitcnt lgkmcnt(0)
	s_barrier
	s_and_saveexec_b64 s[0:1], vcc
	s_cbranch_execz .LBB41_34
; %bb.33:
	ds_read2_b64 v[12:15], v0 offset1:4
	s_waitcnt lgkmcnt(0)
	v_pk_add_f32 v[12:13], v[14:15], v[12:13]
	ds_write_b64 v0, v[12:13]
.LBB41_34:
	s_or_b64 exec, exec, s[0:1]
	v_cmp_gt_u32_e32 vcc, 2, v10
	s_waitcnt lgkmcnt(0)
	s_barrier
	s_and_saveexec_b64 s[0:1], vcc
	s_cbranch_execz .LBB41_36
; %bb.35:
	ds_read2_b64 v[12:15], v0 offset1:2
	s_waitcnt lgkmcnt(0)
	v_pk_add_f32 v[12:13], v[14:15], v[12:13]
	ds_write_b64 v0, v[12:13]
.LBB41_36:
	s_or_b64 exec, exec, s[0:1]
	v_cmp_eq_u32_e32 vcc, 0, v10
	v_lshlrev_b32_e32 v2, 6, v2
	s_waitcnt lgkmcnt(0)
	s_barrier
	s_and_saveexec_b64 s[0:1], vcc
	s_cbranch_execz .LBB41_38
; %bb.37:
	ds_read_b64 v[10:11], v2 offset:8
	ds_read_b64 v[12:13], v0
	s_waitcnt lgkmcnt(0)
	v_pk_add_f32 v[10:11], v[10:11], v[12:13]
	ds_write_b64 v0, v[10:11]
.LBB41_38:
	s_or_b64 exec, exec, s[0:1]
	s_waitcnt lgkmcnt(0)
	s_barrier
	s_and_b64 exec, exec, vcc
	s_cbranch_execz .LBB41_40
; %bb.39:
	v_mov_b32_e32 v0, s3
	v_add_co_u32_e32 v8, vcc, s2, v8
	v_addc_co_u32_e32 v9, vcc, v0, v9, vcc
	global_load_dwordx2 v[10:11], v[8:9], off
	ds_read_b64 v[12:13], v2
	v_xor_b32_e32 v15, 0x80000000, v3
	s_waitcnt lgkmcnt(0)
	v_mov_b32_e32 v7, v13
	v_mov_b32_e32 v5, v12
	s_waitcnt vmcnt(0)
	v_mov_b32_e32 v14, v10
	v_mov_b32_e32 v0, v11
	v_pk_mul_f32 v[12:13], v[6:7], v[14:15]
	v_pk_fma_f32 v[12:13], v[0:1], v[4:5], v[12:13]
	v_xor_b32_e32 v0, 0x80000000, v11
	v_mov_b32_e32 v2, v10
	v_pk_mul_f32 v[0:1], v[6:7], v[0:1]
	v_pk_fma_f32 v[0:1], v[2:3], v[4:5], v[0:1]
	v_pk_add_f32 v[0:1], v[12:13], v[0:1] op_sel:[0,1] op_sel_hi:[1,0]
	v_mov_b32_e32 v2, v1
	v_mov_b32_e32 v3, v0
	global_store_dwordx2 v[8:9], v[2:3], off
.LBB41_40:
	s_endpgm
	.section	.rodata,"a",@progbits
	.p2align	6, 0x0
	.amdhsa_kernel _ZN9rocsparseL17sddmm_coox_kernelILi512ELi8ELb0E21rocsparse_complex_numIfEllS2_S2_S2_EEv20rocsparse_operation_S3_16rocsparse_order_S4_T4_S5_S5_T3_NS_24const_host_device_scalarIT2_EEPKT5_lPKT6_lS9_PT7_PKS6_SJ_21rocsparse_index_base_b
		.amdhsa_group_segment_fixed_size 4096
		.amdhsa_private_segment_fixed_size 0
		.amdhsa_kernarg_size 128
		.amdhsa_user_sgpr_count 6
		.amdhsa_user_sgpr_private_segment_buffer 1
		.amdhsa_user_sgpr_dispatch_ptr 0
		.amdhsa_user_sgpr_queue_ptr 0
		.amdhsa_user_sgpr_kernarg_segment_ptr 1
		.amdhsa_user_sgpr_dispatch_id 0
		.amdhsa_user_sgpr_flat_scratch_init 0
		.amdhsa_user_sgpr_kernarg_preload_length 0
		.amdhsa_user_sgpr_kernarg_preload_offset 0
		.amdhsa_user_sgpr_private_segment_size 0
		.amdhsa_uses_dynamic_stack 0
		.amdhsa_system_sgpr_private_segment_wavefront_offset 0
		.amdhsa_system_sgpr_workgroup_id_x 1
		.amdhsa_system_sgpr_workgroup_id_y 0
		.amdhsa_system_sgpr_workgroup_id_z 0
		.amdhsa_system_sgpr_workgroup_info 0
		.amdhsa_system_vgpr_workitem_id 0
		.amdhsa_next_free_vgpr 26
		.amdhsa_next_free_sgpr 24
		.amdhsa_accum_offset 28
		.amdhsa_reserve_vcc 1
		.amdhsa_reserve_flat_scratch 0
		.amdhsa_float_round_mode_32 0
		.amdhsa_float_round_mode_16_64 0
		.amdhsa_float_denorm_mode_32 3
		.amdhsa_float_denorm_mode_16_64 3
		.amdhsa_dx10_clamp 1
		.amdhsa_ieee_mode 1
		.amdhsa_fp16_overflow 0
		.amdhsa_tg_split 0
		.amdhsa_exception_fp_ieee_invalid_op 0
		.amdhsa_exception_fp_denorm_src 0
		.amdhsa_exception_fp_ieee_div_zero 0
		.amdhsa_exception_fp_ieee_overflow 0
		.amdhsa_exception_fp_ieee_underflow 0
		.amdhsa_exception_fp_ieee_inexact 0
		.amdhsa_exception_int_div_zero 0
	.end_amdhsa_kernel
	.section	.text._ZN9rocsparseL17sddmm_coox_kernelILi512ELi8ELb0E21rocsparse_complex_numIfEllS2_S2_S2_EEv20rocsparse_operation_S3_16rocsparse_order_S4_T4_S5_S5_T3_NS_24const_host_device_scalarIT2_EEPKT5_lPKT6_lS9_PT7_PKS6_SJ_21rocsparse_index_base_b,"axG",@progbits,_ZN9rocsparseL17sddmm_coox_kernelILi512ELi8ELb0E21rocsparse_complex_numIfEllS2_S2_S2_EEv20rocsparse_operation_S3_16rocsparse_order_S4_T4_S5_S5_T3_NS_24const_host_device_scalarIT2_EEPKT5_lPKT6_lS9_PT7_PKS6_SJ_21rocsparse_index_base_b,comdat
.Lfunc_end41:
	.size	_ZN9rocsparseL17sddmm_coox_kernelILi512ELi8ELb0E21rocsparse_complex_numIfEllS2_S2_S2_EEv20rocsparse_operation_S3_16rocsparse_order_S4_T4_S5_S5_T3_NS_24const_host_device_scalarIT2_EEPKT5_lPKT6_lS9_PT7_PKS6_SJ_21rocsparse_index_base_b, .Lfunc_end41-_ZN9rocsparseL17sddmm_coox_kernelILi512ELi8ELb0E21rocsparse_complex_numIfEllS2_S2_S2_EEv20rocsparse_operation_S3_16rocsparse_order_S4_T4_S5_S5_T3_NS_24const_host_device_scalarIT2_EEPKT5_lPKT6_lS9_PT7_PKS6_SJ_21rocsparse_index_base_b
                                        ; -- End function
	.section	.AMDGPU.csdata,"",@progbits
; Kernel info:
; codeLenInByte = 1376
; NumSgprs: 28
; NumVgprs: 26
; NumAgprs: 0
; TotalNumVgprs: 26
; ScratchSize: 0
; MemoryBound: 0
; FloatMode: 240
; IeeeMode: 1
; LDSByteSize: 4096 bytes/workgroup (compile time only)
; SGPRBlocks: 3
; VGPRBlocks: 3
; NumSGPRsForWavesPerEU: 28
; NumVGPRsForWavesPerEU: 26
; AccumOffset: 28
; Occupancy: 8
; WaveLimiterHint : 0
; COMPUTE_PGM_RSRC2:SCRATCH_EN: 0
; COMPUTE_PGM_RSRC2:USER_SGPR: 6
; COMPUTE_PGM_RSRC2:TRAP_HANDLER: 0
; COMPUTE_PGM_RSRC2:TGID_X_EN: 1
; COMPUTE_PGM_RSRC2:TGID_Y_EN: 0
; COMPUTE_PGM_RSRC2:TGID_Z_EN: 0
; COMPUTE_PGM_RSRC2:TIDIG_COMP_CNT: 0
; COMPUTE_PGM_RSRC3_GFX90A:ACCUM_OFFSET: 6
; COMPUTE_PGM_RSRC3_GFX90A:TG_SPLIT: 0
	.section	.text._ZN9rocsparseL17sddmm_coox_kernelILi512ELi4ELb0E21rocsparse_complex_numIfEllS2_S2_S2_EEv20rocsparse_operation_S3_16rocsparse_order_S4_T4_S5_S5_T3_NS_24const_host_device_scalarIT2_EEPKT5_lPKT6_lS9_PT7_PKS6_SJ_21rocsparse_index_base_b,"axG",@progbits,_ZN9rocsparseL17sddmm_coox_kernelILi512ELi4ELb0E21rocsparse_complex_numIfEllS2_S2_S2_EEv20rocsparse_operation_S3_16rocsparse_order_S4_T4_S5_S5_T3_NS_24const_host_device_scalarIT2_EEPKT5_lPKT6_lS9_PT7_PKS6_SJ_21rocsparse_index_base_b,comdat
	.globl	_ZN9rocsparseL17sddmm_coox_kernelILi512ELi4ELb0E21rocsparse_complex_numIfEllS2_S2_S2_EEv20rocsparse_operation_S3_16rocsparse_order_S4_T4_S5_S5_T3_NS_24const_host_device_scalarIT2_EEPKT5_lPKT6_lS9_PT7_PKS6_SJ_21rocsparse_index_base_b ; -- Begin function _ZN9rocsparseL17sddmm_coox_kernelILi512ELi4ELb0E21rocsparse_complex_numIfEllS2_S2_S2_EEv20rocsparse_operation_S3_16rocsparse_order_S4_T4_S5_S5_T3_NS_24const_host_device_scalarIT2_EEPKT5_lPKT6_lS9_PT7_PKS6_SJ_21rocsparse_index_base_b
	.p2align	8
	.type	_ZN9rocsparseL17sddmm_coox_kernelILi512ELi4ELb0E21rocsparse_complex_numIfEllS2_S2_S2_EEv20rocsparse_operation_S3_16rocsparse_order_S4_T4_S5_S5_T3_NS_24const_host_device_scalarIT2_EEPKT5_lPKT6_lS9_PT7_PKS6_SJ_21rocsparse_index_base_b,@function
_ZN9rocsparseL17sddmm_coox_kernelILi512ELi4ELb0E21rocsparse_complex_numIfEllS2_S2_S2_EEv20rocsparse_operation_S3_16rocsparse_order_S4_T4_S5_S5_T3_NS_24const_host_device_scalarIT2_EEPKT5_lPKT6_lS9_PT7_PKS6_SJ_21rocsparse_index_base_b: ; @_ZN9rocsparseL17sddmm_coox_kernelILi512ELi4ELb0E21rocsparse_complex_numIfEllS2_S2_S2_EEv20rocsparse_operation_S3_16rocsparse_order_S4_T4_S5_S5_T3_NS_24const_host_device_scalarIT2_EEPKT5_lPKT6_lS9_PT7_PKS6_SJ_21rocsparse_index_base_b
; %bb.0:
	s_load_dwordx2 s[16:17], s[4:5], 0x78
	s_load_dwordx2 s[2:3], s[4:5], 0x30
	s_waitcnt lgkmcnt(0)
	s_bitcmp1_b32 s17, 0
	s_cselect_b64 s[0:1], -1, 0
	s_xor_b64 s[12:13], s[0:1], -1
	s_and_b64 vcc, exec, s[0:1]
	v_mov_b32_e32 v1, s2
	s_cbranch_vccnz .LBB42_2
; %bb.1:
	v_pk_mov_b32 v[2:3], s[2:3], s[2:3] op_sel:[0,1]
	flat_load_dword v1, v[2:3]
.LBB42_2:
	s_load_dwordx4 s[8:11], s[4:5], 0x50
	v_cndmask_b32_e64 v2, 0, 1, s[12:13]
	v_cmp_ne_u32_e64 s[0:1], 1, v2
	s_andn2_b64 vcc, exec, s[12:13]
	v_mov_b32_e32 v3, s3
	s_cbranch_vccz .LBB42_14
; %bb.3:
	s_and_b64 vcc, exec, s[0:1]
	s_waitcnt lgkmcnt(0)
	v_mov_b32_e32 v4, s10
	s_cbranch_vccz .LBB42_15
.LBB42_4:
	s_and_b64 vcc, exec, s[0:1]
	v_mov_b32_e32 v6, s11
	s_cbranch_vccnz .LBB42_6
.LBB42_5:
	v_pk_mov_b32 v[6:7], s[10:11], s[10:11] op_sel:[0,1]
	flat_load_dword v6, v[6:7] offset:4
.LBB42_6:
	s_waitcnt vmcnt(0)
	v_or_b32_e32 v2, v1, v3
	v_and_b32_e32 v2, 0x7fffffff, v2
	v_cmp_eq_u32_e32 vcc, 0, v2
	s_mov_b64 s[0:1], -1
	s_and_saveexec_b64 s[2:3], vcc
	s_cbranch_execz .LBB42_8
; %bb.7:
	s_waitcnt lgkmcnt(0)
	v_cmp_neq_f32_e32 vcc, 1.0, v4
	v_cmp_neq_f32_e64 s[0:1], 0, v6
	s_or_b64 s[0:1], vcc, s[0:1]
	s_orn2_b64 s[0:1], s[0:1], exec
.LBB42_8:
	s_or_b64 exec, exec, s[2:3]
	s_and_saveexec_b64 s[2:3], s[0:1]
	s_cbranch_execz .LBB42_38
; %bb.9:
	s_load_dwordx4 s[0:3], s[4:5], 0x20
	v_lshrrev_b32_e32 v2, 2, v0
	v_lshl_or_b32 v8, s6, 7, v2
	v_mov_b32_e32 v9, 0
	s_waitcnt lgkmcnt(0)
	v_cmp_gt_i64_e32 vcc, s[2:3], v[8:9]
	s_and_b64 exec, exec, vcc
	s_cbranch_execz .LBB42_38
; %bb.10:
	s_load_dwordx4 s[12:15], s[4:5], 0x68
	v_lshlrev_b64 v[8:9], 3, v[8:9]
	s_mov_b32 s17, 0
	s_waitcnt lgkmcnt(0)
	v_mov_b32_e32 v5, s13
	v_add_co_u32_e32 v10, vcc, s12, v8
	v_addc_co_u32_e32 v11, vcc, v5, v9, vcc
	global_load_dwordx2 v[10:11], v[10:11], off
	v_mov_b32_e32 v5, s15
	v_add_co_u32_e32 v12, vcc, s14, v8
	v_addc_co_u32_e32 v13, vcc, v5, v9, vcc
	global_load_dwordx2 v[12:13], v[12:13], off
	s_load_dwordx4 s[12:15], s[4:5], 0x0
	s_load_dwordx2 s[6:7], s[4:5], 0x40
	s_waitcnt lgkmcnt(0)
	s_cmp_eq_u32 s14, 1
	s_cselect_b64 s[10:11], -1, 0
	s_cmpk_eq_i32 s12, 0x6f
	s_cselect_b64 s[18:19], -1, 0
	s_cmpk_lg_i32 s12, 0x6f
	s_cselect_b64 s[2:3], -1, 0
	s_cmp_lg_u32 s14, 1
	s_waitcnt vmcnt(1)
	v_subrev_co_u32_e32 v14, vcc, s16, v10
	v_subbrev_co_u32_e32 v15, vcc, 0, v11, vcc
	s_cbranch_scc0 .LBB42_16
; %bb.11:
	s_andn2_b64 vcc, exec, s[18:19]
	v_pk_mov_b32 v[10:11], v[14:15], v[14:15] op_sel:[0,1]
	s_cbranch_vccnz .LBB42_13
; %bb.12:
	v_mul_lo_u32 v5, v15, s6
	v_mul_lo_u32 v7, v14, s7
	v_mad_u64_u32 v[10:11], s[20:21], v14, s6, 0
	v_add3_u32 v11, v11, v7, v5
.LBB42_13:
	s_cbranch_execz .LBB42_17
	s_branch .LBB42_20
.LBB42_14:
	v_pk_mov_b32 v[2:3], s[2:3], s[2:3] op_sel:[0,1]
	flat_load_dword v3, v[2:3] offset:4
	s_and_b64 vcc, exec, s[0:1]
	s_waitcnt lgkmcnt(0)
	v_mov_b32_e32 v4, s10
	s_cbranch_vccnz .LBB42_4
.LBB42_15:
	v_pk_mov_b32 v[4:5], s[10:11], s[10:11] op_sel:[0,1]
	flat_load_dword v4, v[4:5]
	s_and_b64 vcc, exec, s[0:1]
	v_mov_b32_e32 v6, s11
	s_cbranch_vccz .LBB42_5
	s_branch .LBB42_6
.LBB42_16:
                                        ; implicit-def: $vgpr10_vgpr11
.LBB42_17:
	s_andn2_b64 vcc, exec, s[2:3]
	s_cbranch_vccnz .LBB42_19
; %bb.18:
	v_mul_lo_u32 v5, v15, s6
	v_mul_lo_u32 v7, v14, s7
	v_mad_u64_u32 v[14:15], s[2:3], v14, s6, 0
	v_add3_u32 v15, v15, v7, v5
.LBB42_19:
	v_pk_mov_b32 v[10:11], v[14:15], v[14:15] op_sel:[0,1]
.LBB42_20:
	s_cmp_eq_u32 s15, 1
	s_cselect_b64 s[20:21], -1, 0
	s_cmpk_eq_i32 s13, 0x6f
	v_mov_b32_e32 v5, s17
	s_cselect_b64 s[22:23], -1, 0
	s_cmpk_lg_i32 s13, 0x6f
	s_waitcnt vmcnt(0)
	v_subrev_co_u32_e32 v12, vcc, s16, v12
	s_cselect_b64 s[2:3], -1, 0
	s_cmp_lg_u32 s15, 1
	v_subb_co_u32_e32 v13, vcc, v13, v5, vcc
	s_cbranch_scc0 .LBB42_24
; %bb.21:
	s_andn2_b64 vcc, exec, s[2:3]
	v_pk_mov_b32 v[16:17], v[12:13], v[12:13] op_sel:[0,1]
	s_cbranch_vccnz .LBB42_23
; %bb.22:
	v_mul_lo_u32 v5, v13, s8
	v_mul_lo_u32 v7, v12, s9
	v_mad_u64_u32 v[16:17], s[2:3], v12, s8, 0
	v_add3_u32 v17, v17, v7, v5
.LBB42_23:
	s_cbranch_execz .LBB42_25
	s_branch .LBB42_28
.LBB42_24:
                                        ; implicit-def: $vgpr16_vgpr17
.LBB42_25:
	s_andn2_b64 vcc, exec, s[22:23]
	s_cbranch_vccnz .LBB42_27
; %bb.26:
	v_mul_lo_u32 v5, v13, s8
	v_mul_lo_u32 v7, v12, s9
	v_mad_u64_u32 v[12:13], s[2:3], v12, s8, 0
	v_add3_u32 v13, v13, v7, v5
.LBB42_27:
	v_pk_mov_b32 v[16:17], v[12:13], v[12:13] op_sel:[0,1]
.LBB42_28:
	s_load_dwordx2 s[2:3], s[4:5], 0x60
	v_and_b32_e32 v12, 3, v0
	v_mov_b32_e32 v13, 0
	v_cmp_gt_i64_e32 vcc, s[0:1], v[12:13]
	v_mov_b32_e32 v15, v13
	v_mov_b32_e32 v14, v13
	s_and_saveexec_b64 s[12:13], vcc
	s_cbranch_execz .LBB42_32
; %bb.29:
	s_load_dwordx2 s[14:15], s[4:5], 0x38
	s_load_dwordx2 s[16:17], s[4:5], 0x48
	s_xor_b64 s[4:5], s[18:19], s[10:11]
	s_and_b64 s[4:5], s[4:5], exec
	s_cselect_b32 s7, 0, s7
	s_cselect_b32 s6, 1, s6
	s_xor_b64 s[4:5], s[22:23], s[20:21]
	s_and_b64 s[4:5], s[4:5], exec
	s_cselect_b32 s4, s8, 1
	s_cselect_b32 s5, s9, 0
	v_mad_u64_u32 v[14:15], s[8:9], s4, v12, 0
	v_mov_b32_e32 v0, v15
	v_mad_u64_u32 v[18:19], s[8:9], s5, v12, v[0:1]
	v_mov_b32_e32 v15, v18
	v_lshlrev_b64 v[14:15], 3, v[14:15]
	v_lshlrev_b64 v[16:17], 3, v[16:17]
	v_add_co_u32_e32 v0, vcc, v14, v16
	v_addc_co_u32_e32 v5, vcc, v15, v17, vcc
	s_waitcnt lgkmcnt(0)
	v_mov_b32_e32 v7, s17
	v_add_co_u32_e32 v0, vcc, s16, v0
	v_addc_co_u32_e32 v5, vcc, v5, v7, vcc
	v_mad_u64_u32 v[14:15], s[8:9], s6, v12, 0
	v_add_co_u32_e32 v16, vcc, 4, v0
	v_mov_b32_e32 v0, v15
	v_mad_u64_u32 v[18:19], s[8:9], s7, v12, v[0:1]
	v_mov_b32_e32 v15, v18
	v_addc_co_u32_e32 v17, vcc, 0, v5, vcc
	v_lshlrev_b64 v[14:15], 3, v[14:15]
	v_lshlrev_b64 v[10:11], 3, v[10:11]
	v_add_co_u32_e32 v0, vcc, v14, v10
	v_addc_co_u32_e32 v5, vcc, v15, v11, vcc
	s_lshl_b64 s[4:5], s[4:5], 5
	v_mov_b32_e32 v7, s15
	v_add_co_u32_e32 v10, vcc, s14, v0
	s_lshl_b64 s[8:9], s[6:7], 5
	v_mov_b32_e32 v14, 0
	v_addc_co_u32_e32 v11, vcc, v7, v5, vcc
	s_mov_b64 s[6:7], 0
	v_mov_b32_e32 v0, s5
	v_mov_b32_e32 v5, s9
	v_pk_mov_b32 v[18:19], v[12:13], v[12:13] op_sel:[0,1]
	v_mov_b32_e32 v15, v14
.LBB42_30:                              ; =>This Inner Loop Header: Depth=1
	global_load_dwordx2 v[20:21], v[10:11], off
	global_load_dwordx2 v[22:23], v[16:17], off offset:-4
	v_add_co_u32_e32 v18, vcc, 4, v18
	v_addc_co_u32_e32 v19, vcc, 0, v19, vcc
	v_add_co_u32_e32 v16, vcc, s4, v16
	v_addc_co_u32_e32 v17, vcc, v17, v0, vcc
	;; [unrolled: 2-line block ×3, first 2 shown]
	v_cmp_le_i64_e32 vcc, s[0:1], v[18:19]
	s_or_b64 s[6:7], vcc, s[6:7]
	s_waitcnt vmcnt(0)
	v_pk_mul_f32 v[24:25], v[22:23], v[20:21] op_sel:[1,1] op_sel_hi:[1,0] neg_lo:[0,1]
	v_pk_fma_f32 v[20:21], v[20:21], v[22:23], v[24:25] op_sel_hi:[1,0,1]
	v_pk_add_f32 v[14:15], v[14:15], v[20:21]
	s_andn2_b64 exec, exec, s[6:7]
	s_cbranch_execnz .LBB42_30
; %bb.31:
	s_or_b64 exec, exec, s[6:7]
.LBB42_32:
	s_or_b64 exec, exec, s[12:13]
	v_lshlrev_b32_e32 v0, 3, v12
	v_lshl_or_b32 v0, v2, 5, v0
	v_cmp_gt_u32_e32 vcc, 2, v12
	ds_write_b64 v0, v[14:15]
	s_waitcnt lgkmcnt(0)
	s_barrier
	s_and_saveexec_b64 s[0:1], vcc
	s_cbranch_execz .LBB42_34
; %bb.33:
	ds_read2_b64 v[14:17], v0 offset1:2
	s_waitcnt lgkmcnt(0)
	v_pk_add_f32 v[10:11], v[16:17], v[14:15]
	ds_write_b64 v0, v[10:11]
.LBB42_34:
	s_or_b64 exec, exec, s[0:1]
	v_cmp_eq_u32_e32 vcc, 0, v12
	v_lshlrev_b32_e32 v2, 5, v2
	s_waitcnt lgkmcnt(0)
	s_barrier
	s_and_saveexec_b64 s[0:1], vcc
	s_cbranch_execz .LBB42_36
; %bb.35:
	ds_read_b64 v[10:11], v2 offset:8
	ds_read_b64 v[12:13], v0
	s_waitcnt lgkmcnt(0)
	v_pk_add_f32 v[10:11], v[10:11], v[12:13]
	ds_write_b64 v0, v[10:11]
.LBB42_36:
	s_or_b64 exec, exec, s[0:1]
	s_waitcnt lgkmcnt(0)
	s_barrier
	s_and_b64 exec, exec, vcc
	s_cbranch_execz .LBB42_38
; %bb.37:
	v_mov_b32_e32 v0, s3
	v_add_co_u32_e32 v8, vcc, s2, v8
	v_addc_co_u32_e32 v9, vcc, v0, v9, vcc
	global_load_dwordx2 v[10:11], v[8:9], off
	ds_read_b64 v[12:13], v2
	v_xor_b32_e32 v15, 0x80000000, v3
	s_waitcnt lgkmcnt(0)
	v_mov_b32_e32 v7, v13
	v_mov_b32_e32 v5, v12
	s_waitcnt vmcnt(0)
	v_mov_b32_e32 v14, v10
	v_mov_b32_e32 v0, v11
	v_pk_mul_f32 v[12:13], v[6:7], v[14:15]
	v_pk_fma_f32 v[12:13], v[0:1], v[4:5], v[12:13]
	v_xor_b32_e32 v0, 0x80000000, v11
	v_mov_b32_e32 v2, v10
	v_pk_mul_f32 v[0:1], v[6:7], v[0:1]
	v_pk_fma_f32 v[0:1], v[2:3], v[4:5], v[0:1]
	v_pk_add_f32 v[0:1], v[12:13], v[0:1] op_sel:[0,1] op_sel_hi:[1,0]
	v_mov_b32_e32 v2, v1
	v_mov_b32_e32 v3, v0
	global_store_dwordx2 v[8:9], v[2:3], off
.LBB42_38:
	s_endpgm
	.section	.rodata,"a",@progbits
	.p2align	6, 0x0
	.amdhsa_kernel _ZN9rocsparseL17sddmm_coox_kernelILi512ELi4ELb0E21rocsparse_complex_numIfEllS2_S2_S2_EEv20rocsparse_operation_S3_16rocsparse_order_S4_T4_S5_S5_T3_NS_24const_host_device_scalarIT2_EEPKT5_lPKT6_lS9_PT7_PKS6_SJ_21rocsparse_index_base_b
		.amdhsa_group_segment_fixed_size 4096
		.amdhsa_private_segment_fixed_size 0
		.amdhsa_kernarg_size 128
		.amdhsa_user_sgpr_count 6
		.amdhsa_user_sgpr_private_segment_buffer 1
		.amdhsa_user_sgpr_dispatch_ptr 0
		.amdhsa_user_sgpr_queue_ptr 0
		.amdhsa_user_sgpr_kernarg_segment_ptr 1
		.amdhsa_user_sgpr_dispatch_id 0
		.amdhsa_user_sgpr_flat_scratch_init 0
		.amdhsa_user_sgpr_kernarg_preload_length 0
		.amdhsa_user_sgpr_kernarg_preload_offset 0
		.amdhsa_user_sgpr_private_segment_size 0
		.amdhsa_uses_dynamic_stack 0
		.amdhsa_system_sgpr_private_segment_wavefront_offset 0
		.amdhsa_system_sgpr_workgroup_id_x 1
		.amdhsa_system_sgpr_workgroup_id_y 0
		.amdhsa_system_sgpr_workgroup_id_z 0
		.amdhsa_system_sgpr_workgroup_info 0
		.amdhsa_system_vgpr_workitem_id 0
		.amdhsa_next_free_vgpr 26
		.amdhsa_next_free_sgpr 24
		.amdhsa_accum_offset 28
		.amdhsa_reserve_vcc 1
		.amdhsa_reserve_flat_scratch 0
		.amdhsa_float_round_mode_32 0
		.amdhsa_float_round_mode_16_64 0
		.amdhsa_float_denorm_mode_32 3
		.amdhsa_float_denorm_mode_16_64 3
		.amdhsa_dx10_clamp 1
		.amdhsa_ieee_mode 1
		.amdhsa_fp16_overflow 0
		.amdhsa_tg_split 0
		.amdhsa_exception_fp_ieee_invalid_op 0
		.amdhsa_exception_fp_denorm_src 0
		.amdhsa_exception_fp_ieee_div_zero 0
		.amdhsa_exception_fp_ieee_overflow 0
		.amdhsa_exception_fp_ieee_underflow 0
		.amdhsa_exception_fp_ieee_inexact 0
		.amdhsa_exception_int_div_zero 0
	.end_amdhsa_kernel
	.section	.text._ZN9rocsparseL17sddmm_coox_kernelILi512ELi4ELb0E21rocsparse_complex_numIfEllS2_S2_S2_EEv20rocsparse_operation_S3_16rocsparse_order_S4_T4_S5_S5_T3_NS_24const_host_device_scalarIT2_EEPKT5_lPKT6_lS9_PT7_PKS6_SJ_21rocsparse_index_base_b,"axG",@progbits,_ZN9rocsparseL17sddmm_coox_kernelILi512ELi4ELb0E21rocsparse_complex_numIfEllS2_S2_S2_EEv20rocsparse_operation_S3_16rocsparse_order_S4_T4_S5_S5_T3_NS_24const_host_device_scalarIT2_EEPKT5_lPKT6_lS9_PT7_PKS6_SJ_21rocsparse_index_base_b,comdat
.Lfunc_end42:
	.size	_ZN9rocsparseL17sddmm_coox_kernelILi512ELi4ELb0E21rocsparse_complex_numIfEllS2_S2_S2_EEv20rocsparse_operation_S3_16rocsparse_order_S4_T4_S5_S5_T3_NS_24const_host_device_scalarIT2_EEPKT5_lPKT6_lS9_PT7_PKS6_SJ_21rocsparse_index_base_b, .Lfunc_end42-_ZN9rocsparseL17sddmm_coox_kernelILi512ELi4ELb0E21rocsparse_complex_numIfEllS2_S2_S2_EEv20rocsparse_operation_S3_16rocsparse_order_S4_T4_S5_S5_T3_NS_24const_host_device_scalarIT2_EEPKT5_lPKT6_lS9_PT7_PKS6_SJ_21rocsparse_index_base_b
                                        ; -- End function
	.section	.AMDGPU.csdata,"",@progbits
; Kernel info:
; codeLenInByte = 1324
; NumSgprs: 28
; NumVgprs: 26
; NumAgprs: 0
; TotalNumVgprs: 26
; ScratchSize: 0
; MemoryBound: 0
; FloatMode: 240
; IeeeMode: 1
; LDSByteSize: 4096 bytes/workgroup (compile time only)
; SGPRBlocks: 3
; VGPRBlocks: 3
; NumSGPRsForWavesPerEU: 28
; NumVGPRsForWavesPerEU: 26
; AccumOffset: 28
; Occupancy: 8
; WaveLimiterHint : 0
; COMPUTE_PGM_RSRC2:SCRATCH_EN: 0
; COMPUTE_PGM_RSRC2:USER_SGPR: 6
; COMPUTE_PGM_RSRC2:TRAP_HANDLER: 0
; COMPUTE_PGM_RSRC2:TGID_X_EN: 1
; COMPUTE_PGM_RSRC2:TGID_Y_EN: 0
; COMPUTE_PGM_RSRC2:TGID_Z_EN: 0
; COMPUTE_PGM_RSRC2:TIDIG_COMP_CNT: 0
; COMPUTE_PGM_RSRC3_GFX90A:ACCUM_OFFSET: 6
; COMPUTE_PGM_RSRC3_GFX90A:TG_SPLIT: 0
	.section	.text._ZN9rocsparseL17sddmm_coox_kernelILi512ELi2ELb0E21rocsparse_complex_numIfEllS2_S2_S2_EEv20rocsparse_operation_S3_16rocsparse_order_S4_T4_S5_S5_T3_NS_24const_host_device_scalarIT2_EEPKT5_lPKT6_lS9_PT7_PKS6_SJ_21rocsparse_index_base_b,"axG",@progbits,_ZN9rocsparseL17sddmm_coox_kernelILi512ELi2ELb0E21rocsparse_complex_numIfEllS2_S2_S2_EEv20rocsparse_operation_S3_16rocsparse_order_S4_T4_S5_S5_T3_NS_24const_host_device_scalarIT2_EEPKT5_lPKT6_lS9_PT7_PKS6_SJ_21rocsparse_index_base_b,comdat
	.globl	_ZN9rocsparseL17sddmm_coox_kernelILi512ELi2ELb0E21rocsparse_complex_numIfEllS2_S2_S2_EEv20rocsparse_operation_S3_16rocsparse_order_S4_T4_S5_S5_T3_NS_24const_host_device_scalarIT2_EEPKT5_lPKT6_lS9_PT7_PKS6_SJ_21rocsparse_index_base_b ; -- Begin function _ZN9rocsparseL17sddmm_coox_kernelILi512ELi2ELb0E21rocsparse_complex_numIfEllS2_S2_S2_EEv20rocsparse_operation_S3_16rocsparse_order_S4_T4_S5_S5_T3_NS_24const_host_device_scalarIT2_EEPKT5_lPKT6_lS9_PT7_PKS6_SJ_21rocsparse_index_base_b
	.p2align	8
	.type	_ZN9rocsparseL17sddmm_coox_kernelILi512ELi2ELb0E21rocsparse_complex_numIfEllS2_S2_S2_EEv20rocsparse_operation_S3_16rocsparse_order_S4_T4_S5_S5_T3_NS_24const_host_device_scalarIT2_EEPKT5_lPKT6_lS9_PT7_PKS6_SJ_21rocsparse_index_base_b,@function
_ZN9rocsparseL17sddmm_coox_kernelILi512ELi2ELb0E21rocsparse_complex_numIfEllS2_S2_S2_EEv20rocsparse_operation_S3_16rocsparse_order_S4_T4_S5_S5_T3_NS_24const_host_device_scalarIT2_EEPKT5_lPKT6_lS9_PT7_PKS6_SJ_21rocsparse_index_base_b: ; @_ZN9rocsparseL17sddmm_coox_kernelILi512ELi2ELb0E21rocsparse_complex_numIfEllS2_S2_S2_EEv20rocsparse_operation_S3_16rocsparse_order_S4_T4_S5_S5_T3_NS_24const_host_device_scalarIT2_EEPKT5_lPKT6_lS9_PT7_PKS6_SJ_21rocsparse_index_base_b
; %bb.0:
	s_load_dwordx2 s[16:17], s[4:5], 0x78
	s_load_dwordx2 s[2:3], s[4:5], 0x30
	s_waitcnt lgkmcnt(0)
	s_bitcmp1_b32 s17, 0
	s_cselect_b64 s[0:1], -1, 0
	s_xor_b64 s[12:13], s[0:1], -1
	s_and_b64 vcc, exec, s[0:1]
	v_mov_b32_e32 v1, s2
	s_cbranch_vccnz .LBB43_2
; %bb.1:
	v_pk_mov_b32 v[2:3], s[2:3], s[2:3] op_sel:[0,1]
	flat_load_dword v1, v[2:3]
.LBB43_2:
	s_load_dwordx4 s[8:11], s[4:5], 0x50
	v_cndmask_b32_e64 v2, 0, 1, s[12:13]
	v_cmp_ne_u32_e64 s[0:1], 1, v2
	s_andn2_b64 vcc, exec, s[12:13]
	v_mov_b32_e32 v3, s3
	s_cbranch_vccz .LBB43_14
; %bb.3:
	s_and_b64 vcc, exec, s[0:1]
	s_waitcnt lgkmcnt(0)
	v_mov_b32_e32 v4, s10
	s_cbranch_vccz .LBB43_15
.LBB43_4:
	s_and_b64 vcc, exec, s[0:1]
	v_mov_b32_e32 v6, s11
	s_cbranch_vccnz .LBB43_6
.LBB43_5:
	v_pk_mov_b32 v[6:7], s[10:11], s[10:11] op_sel:[0,1]
	flat_load_dword v6, v[6:7] offset:4
.LBB43_6:
	s_waitcnt vmcnt(0)
	v_or_b32_e32 v2, v1, v3
	v_and_b32_e32 v2, 0x7fffffff, v2
	v_cmp_eq_u32_e32 vcc, 0, v2
	s_mov_b64 s[0:1], -1
	s_and_saveexec_b64 s[2:3], vcc
	s_cbranch_execz .LBB43_8
; %bb.7:
	s_waitcnt lgkmcnt(0)
	v_cmp_neq_f32_e32 vcc, 1.0, v4
	v_cmp_neq_f32_e64 s[0:1], 0, v6
	s_or_b64 s[0:1], vcc, s[0:1]
	s_orn2_b64 s[0:1], s[0:1], exec
.LBB43_8:
	s_or_b64 exec, exec, s[2:3]
	s_and_saveexec_b64 s[2:3], s[0:1]
	s_cbranch_execz .LBB43_36
; %bb.9:
	s_load_dwordx4 s[0:3], s[4:5], 0x20
	v_lshrrev_b32_e32 v2, 1, v0
	v_lshl_or_b32 v8, s6, 8, v2
	v_mov_b32_e32 v9, 0
	s_waitcnt lgkmcnt(0)
	v_cmp_gt_i64_e32 vcc, s[2:3], v[8:9]
	s_and_b64 exec, exec, vcc
	s_cbranch_execz .LBB43_36
; %bb.10:
	s_load_dwordx4 s[12:15], s[4:5], 0x68
	v_lshlrev_b64 v[8:9], 3, v[8:9]
	s_mov_b32 s17, 0
	s_waitcnt lgkmcnt(0)
	v_mov_b32_e32 v5, s13
	v_add_co_u32_e32 v10, vcc, s12, v8
	v_addc_co_u32_e32 v11, vcc, v5, v9, vcc
	global_load_dwordx2 v[10:11], v[10:11], off
	v_mov_b32_e32 v5, s15
	v_add_co_u32_e32 v12, vcc, s14, v8
	v_addc_co_u32_e32 v13, vcc, v5, v9, vcc
	global_load_dwordx2 v[12:13], v[12:13], off
	s_load_dwordx4 s[12:15], s[4:5], 0x0
	s_load_dwordx2 s[2:3], s[4:5], 0x40
	s_waitcnt lgkmcnt(0)
	s_cmp_eq_u32 s14, 1
	s_cselect_b64 s[10:11], -1, 0
	s_cmpk_eq_i32 s12, 0x6f
	s_cselect_b64 s[18:19], -1, 0
	s_cmpk_lg_i32 s12, 0x6f
	s_cselect_b64 s[6:7], -1, 0
	s_cmp_lg_u32 s14, 1
	s_waitcnt vmcnt(1)
	v_subrev_co_u32_e32 v14, vcc, s16, v10
	v_subbrev_co_u32_e32 v15, vcc, 0, v11, vcc
	s_cbranch_scc0 .LBB43_16
; %bb.11:
	s_andn2_b64 vcc, exec, s[18:19]
	v_pk_mov_b32 v[10:11], v[14:15], v[14:15] op_sel:[0,1]
	s_cbranch_vccnz .LBB43_13
; %bb.12:
	v_mul_lo_u32 v5, v15, s2
	v_mul_lo_u32 v7, v14, s3
	v_mad_u64_u32 v[10:11], s[20:21], v14, s2, 0
	v_add3_u32 v11, v11, v7, v5
.LBB43_13:
	s_cbranch_execz .LBB43_17
	s_branch .LBB43_20
.LBB43_14:
	v_pk_mov_b32 v[2:3], s[2:3], s[2:3] op_sel:[0,1]
	flat_load_dword v3, v[2:3] offset:4
	s_and_b64 vcc, exec, s[0:1]
	s_waitcnt lgkmcnt(0)
	v_mov_b32_e32 v4, s10
	s_cbranch_vccnz .LBB43_4
.LBB43_15:
	v_pk_mov_b32 v[4:5], s[10:11], s[10:11] op_sel:[0,1]
	flat_load_dword v4, v[4:5]
	s_and_b64 vcc, exec, s[0:1]
	v_mov_b32_e32 v6, s11
	s_cbranch_vccz .LBB43_5
	s_branch .LBB43_6
.LBB43_16:
                                        ; implicit-def: $vgpr10_vgpr11
.LBB43_17:
	s_andn2_b64 vcc, exec, s[6:7]
	s_cbranch_vccnz .LBB43_19
; %bb.18:
	v_mul_lo_u32 v5, v15, s2
	v_mul_lo_u32 v7, v14, s3
	v_mad_u64_u32 v[14:15], s[6:7], v14, s2, 0
	v_add3_u32 v15, v15, v7, v5
.LBB43_19:
	v_pk_mov_b32 v[10:11], v[14:15], v[14:15] op_sel:[0,1]
.LBB43_20:
	s_cmp_eq_u32 s15, 1
	s_cselect_b64 s[20:21], -1, 0
	s_cmpk_eq_i32 s13, 0x6f
	v_mov_b32_e32 v5, s17
	s_cselect_b64 s[22:23], -1, 0
	s_cmpk_lg_i32 s13, 0x6f
	s_waitcnt vmcnt(0)
	v_subrev_co_u32_e32 v12, vcc, s16, v12
	s_cselect_b64 s[6:7], -1, 0
	s_cmp_lg_u32 s15, 1
	v_subb_co_u32_e32 v13, vcc, v13, v5, vcc
	s_cbranch_scc0 .LBB43_24
; %bb.21:
	s_andn2_b64 vcc, exec, s[6:7]
	v_pk_mov_b32 v[16:17], v[12:13], v[12:13] op_sel:[0,1]
	s_cbranch_vccnz .LBB43_23
; %bb.22:
	v_mul_lo_u32 v5, v13, s8
	v_mul_lo_u32 v7, v12, s9
	v_mad_u64_u32 v[16:17], s[6:7], v12, s8, 0
	v_add3_u32 v17, v17, v7, v5
.LBB43_23:
	s_cbranch_execz .LBB43_25
	s_branch .LBB43_28
.LBB43_24:
                                        ; implicit-def: $vgpr16_vgpr17
.LBB43_25:
	s_andn2_b64 vcc, exec, s[22:23]
	s_cbranch_vccnz .LBB43_27
; %bb.26:
	v_mul_lo_u32 v5, v13, s8
	v_mul_lo_u32 v7, v12, s9
	v_mad_u64_u32 v[12:13], s[6:7], v12, s8, 0
	v_add3_u32 v13, v13, v7, v5
.LBB43_27:
	v_pk_mov_b32 v[16:17], v[12:13], v[12:13] op_sel:[0,1]
.LBB43_28:
	s_load_dwordx2 s[6:7], s[4:5], 0x60
	v_and_b32_e32 v12, 1, v0
	v_mov_b32_e32 v13, 0
	v_cmp_gt_i64_e32 vcc, s[0:1], v[12:13]
	v_mov_b32_e32 v15, v13
	v_mov_b32_e32 v14, v13
	s_and_saveexec_b64 s[12:13], vcc
	s_cbranch_execz .LBB43_32
; %bb.29:
	s_load_dwordx2 s[14:15], s[4:5], 0x38
	s_load_dwordx2 s[16:17], s[4:5], 0x48
	s_xor_b64 s[4:5], s[18:19], s[10:11]
	s_and_b64 s[4:5], s[4:5], exec
	s_cselect_b32 s5, 0, s3
	s_cselect_b32 s4, 1, s2
	s_xor_b64 s[2:3], s[22:23], s[20:21]
	s_and_b64 s[2:3], s[2:3], exec
	s_cselect_b32 s3, s9, 0
	s_cselect_b32 s2, s8, 1
	v_mul_lo_u32 v15, s3, v12
	v_mul_lo_u32 v14, s2, v12
	v_lshlrev_b64 v[14:15], 3, v[14:15]
	v_lshlrev_b64 v[16:17], 3, v[16:17]
	v_add_co_u32_e32 v0, vcc, v14, v16
	v_addc_co_u32_e32 v5, vcc, v15, v17, vcc
	s_waitcnt lgkmcnt(0)
	v_mov_b32_e32 v7, s17
	v_add_co_u32_e32 v0, vcc, s16, v0
	v_addc_co_u32_e32 v5, vcc, v5, v7, vcc
	v_add_co_u32_e32 v16, vcc, 4, v0
	v_mul_lo_u32 v15, s5, v12
	v_mul_lo_u32 v14, s4, v12
	v_addc_co_u32_e32 v17, vcc, 0, v5, vcc
	v_lshlrev_b64 v[14:15], 3, v[14:15]
	v_lshlrev_b64 v[10:11], 3, v[10:11]
	v_add_co_u32_e32 v0, vcc, v14, v10
	v_addc_co_u32_e32 v5, vcc, v15, v11, vcc
	s_lshl_b64 s[2:3], s[2:3], 4
	v_mov_b32_e32 v7, s15
	v_add_co_u32_e32 v10, vcc, s14, v0
	s_lshl_b64 s[8:9], s[4:5], 4
	v_mov_b32_e32 v14, 0
	v_addc_co_u32_e32 v11, vcc, v7, v5, vcc
	s_mov_b64 s[4:5], 0
	v_mov_b32_e32 v0, s3
	v_mov_b32_e32 v5, s9
	v_pk_mov_b32 v[18:19], v[12:13], v[12:13] op_sel:[0,1]
	v_mov_b32_e32 v15, v14
.LBB43_30:                              ; =>This Inner Loop Header: Depth=1
	global_load_dwordx2 v[20:21], v[10:11], off
	global_load_dwordx2 v[22:23], v[16:17], off offset:-4
	v_add_co_u32_e32 v18, vcc, 2, v18
	v_addc_co_u32_e32 v19, vcc, 0, v19, vcc
	v_add_co_u32_e32 v16, vcc, s2, v16
	v_addc_co_u32_e32 v17, vcc, v17, v0, vcc
	;; [unrolled: 2-line block ×3, first 2 shown]
	v_cmp_le_i64_e32 vcc, s[0:1], v[18:19]
	s_or_b64 s[4:5], vcc, s[4:5]
	s_waitcnt vmcnt(0)
	v_pk_mul_f32 v[24:25], v[22:23], v[20:21] op_sel:[1,1] op_sel_hi:[1,0] neg_lo:[0,1]
	v_pk_fma_f32 v[20:21], v[20:21], v[22:23], v[24:25] op_sel_hi:[1,0,1]
	v_pk_add_f32 v[14:15], v[14:15], v[20:21]
	s_andn2_b64 exec, exec, s[4:5]
	s_cbranch_execnz .LBB43_30
; %bb.31:
	s_or_b64 exec, exec, s[4:5]
.LBB43_32:
	s_or_b64 exec, exec, s[12:13]
	v_lshlrev_b32_e32 v0, 4, v2
	v_lshl_or_b32 v2, v12, 3, v0
	v_cmp_eq_u32_e32 vcc, 0, v12
	ds_write_b64 v2, v[14:15]
	s_waitcnt lgkmcnt(0)
	s_barrier
	s_and_saveexec_b64 s[0:1], vcc
	s_cbranch_execz .LBB43_34
; %bb.33:
	ds_read_b64 v[10:11], v0 offset:8
	ds_read_b64 v[12:13], v2
	s_waitcnt lgkmcnt(0)
	v_pk_add_f32 v[10:11], v[10:11], v[12:13]
	ds_write_b64 v2, v[10:11]
.LBB43_34:
	s_or_b64 exec, exec, s[0:1]
	s_waitcnt lgkmcnt(0)
	s_barrier
	s_and_b64 exec, exec, vcc
	s_cbranch_execz .LBB43_36
; %bb.35:
	v_mov_b32_e32 v2, s7
	v_add_co_u32_e32 v8, vcc, s6, v8
	v_addc_co_u32_e32 v9, vcc, v2, v9, vcc
	global_load_dwordx2 v[10:11], v[8:9], off
	ds_read_b64 v[12:13], v0
	v_xor_b32_e32 v15, 0x80000000, v3
	s_waitcnt lgkmcnt(0)
	v_mov_b32_e32 v7, v13
	v_mov_b32_e32 v5, v12
	s_waitcnt vmcnt(0)
	v_mov_b32_e32 v14, v10
	v_mov_b32_e32 v0, v11
	v_pk_mul_f32 v[12:13], v[6:7], v[14:15]
	v_pk_fma_f32 v[12:13], v[0:1], v[4:5], v[12:13]
	v_xor_b32_e32 v0, 0x80000000, v11
	v_mov_b32_e32 v2, v10
	v_pk_mul_f32 v[0:1], v[6:7], v[0:1]
	v_pk_fma_f32 v[0:1], v[2:3], v[4:5], v[0:1]
	v_pk_add_f32 v[0:1], v[12:13], v[0:1] op_sel:[0,1] op_sel_hi:[1,0]
	v_mov_b32_e32 v2, v1
	v_mov_b32_e32 v3, v0
	global_store_dwordx2 v[8:9], v[2:3], off
.LBB43_36:
	s_endpgm
	.section	.rodata,"a",@progbits
	.p2align	6, 0x0
	.amdhsa_kernel _ZN9rocsparseL17sddmm_coox_kernelILi512ELi2ELb0E21rocsparse_complex_numIfEllS2_S2_S2_EEv20rocsparse_operation_S3_16rocsparse_order_S4_T4_S5_S5_T3_NS_24const_host_device_scalarIT2_EEPKT5_lPKT6_lS9_PT7_PKS6_SJ_21rocsparse_index_base_b
		.amdhsa_group_segment_fixed_size 4096
		.amdhsa_private_segment_fixed_size 0
		.amdhsa_kernarg_size 128
		.amdhsa_user_sgpr_count 6
		.amdhsa_user_sgpr_private_segment_buffer 1
		.amdhsa_user_sgpr_dispatch_ptr 0
		.amdhsa_user_sgpr_queue_ptr 0
		.amdhsa_user_sgpr_kernarg_segment_ptr 1
		.amdhsa_user_sgpr_dispatch_id 0
		.amdhsa_user_sgpr_flat_scratch_init 0
		.amdhsa_user_sgpr_kernarg_preload_length 0
		.amdhsa_user_sgpr_kernarg_preload_offset 0
		.amdhsa_user_sgpr_private_segment_size 0
		.amdhsa_uses_dynamic_stack 0
		.amdhsa_system_sgpr_private_segment_wavefront_offset 0
		.amdhsa_system_sgpr_workgroup_id_x 1
		.amdhsa_system_sgpr_workgroup_id_y 0
		.amdhsa_system_sgpr_workgroup_id_z 0
		.amdhsa_system_sgpr_workgroup_info 0
		.amdhsa_system_vgpr_workitem_id 0
		.amdhsa_next_free_vgpr 26
		.amdhsa_next_free_sgpr 24
		.amdhsa_accum_offset 28
		.amdhsa_reserve_vcc 1
		.amdhsa_reserve_flat_scratch 0
		.amdhsa_float_round_mode_32 0
		.amdhsa_float_round_mode_16_64 0
		.amdhsa_float_denorm_mode_32 3
		.amdhsa_float_denorm_mode_16_64 3
		.amdhsa_dx10_clamp 1
		.amdhsa_ieee_mode 1
		.amdhsa_fp16_overflow 0
		.amdhsa_tg_split 0
		.amdhsa_exception_fp_ieee_invalid_op 0
		.amdhsa_exception_fp_denorm_src 0
		.amdhsa_exception_fp_ieee_div_zero 0
		.amdhsa_exception_fp_ieee_overflow 0
		.amdhsa_exception_fp_ieee_underflow 0
		.amdhsa_exception_fp_ieee_inexact 0
		.amdhsa_exception_int_div_zero 0
	.end_amdhsa_kernel
	.section	.text._ZN9rocsparseL17sddmm_coox_kernelILi512ELi2ELb0E21rocsparse_complex_numIfEllS2_S2_S2_EEv20rocsparse_operation_S3_16rocsparse_order_S4_T4_S5_S5_T3_NS_24const_host_device_scalarIT2_EEPKT5_lPKT6_lS9_PT7_PKS6_SJ_21rocsparse_index_base_b,"axG",@progbits,_ZN9rocsparseL17sddmm_coox_kernelILi512ELi2ELb0E21rocsparse_complex_numIfEllS2_S2_S2_EEv20rocsparse_operation_S3_16rocsparse_order_S4_T4_S5_S5_T3_NS_24const_host_device_scalarIT2_EEPKT5_lPKT6_lS9_PT7_PKS6_SJ_21rocsparse_index_base_b,comdat
.Lfunc_end43:
	.size	_ZN9rocsparseL17sddmm_coox_kernelILi512ELi2ELb0E21rocsparse_complex_numIfEllS2_S2_S2_EEv20rocsparse_operation_S3_16rocsparse_order_S4_T4_S5_S5_T3_NS_24const_host_device_scalarIT2_EEPKT5_lPKT6_lS9_PT7_PKS6_SJ_21rocsparse_index_base_b, .Lfunc_end43-_ZN9rocsparseL17sddmm_coox_kernelILi512ELi2ELb0E21rocsparse_complex_numIfEllS2_S2_S2_EEv20rocsparse_operation_S3_16rocsparse_order_S4_T4_S5_S5_T3_NS_24const_host_device_scalarIT2_EEPKT5_lPKT6_lS9_PT7_PKS6_SJ_21rocsparse_index_base_b
                                        ; -- End function
	.section	.AMDGPU.csdata,"",@progbits
; Kernel info:
; codeLenInByte = 1252
; NumSgprs: 28
; NumVgprs: 26
; NumAgprs: 0
; TotalNumVgprs: 26
; ScratchSize: 0
; MemoryBound: 0
; FloatMode: 240
; IeeeMode: 1
; LDSByteSize: 4096 bytes/workgroup (compile time only)
; SGPRBlocks: 3
; VGPRBlocks: 3
; NumSGPRsForWavesPerEU: 28
; NumVGPRsForWavesPerEU: 26
; AccumOffset: 28
; Occupancy: 8
; WaveLimiterHint : 0
; COMPUTE_PGM_RSRC2:SCRATCH_EN: 0
; COMPUTE_PGM_RSRC2:USER_SGPR: 6
; COMPUTE_PGM_RSRC2:TRAP_HANDLER: 0
; COMPUTE_PGM_RSRC2:TGID_X_EN: 1
; COMPUTE_PGM_RSRC2:TGID_Y_EN: 0
; COMPUTE_PGM_RSRC2:TGID_Z_EN: 0
; COMPUTE_PGM_RSRC2:TIDIG_COMP_CNT: 0
; COMPUTE_PGM_RSRC3_GFX90A:ACCUM_OFFSET: 6
; COMPUTE_PGM_RSRC3_GFX90A:TG_SPLIT: 0
	.section	.text._ZN9rocsparseL17sddmm_coox_kernelILi512ELi1ELb0E21rocsparse_complex_numIfEllS2_S2_S2_EEv20rocsparse_operation_S3_16rocsparse_order_S4_T4_S5_S5_T3_NS_24const_host_device_scalarIT2_EEPKT5_lPKT6_lS9_PT7_PKS6_SJ_21rocsparse_index_base_b,"axG",@progbits,_ZN9rocsparseL17sddmm_coox_kernelILi512ELi1ELb0E21rocsparse_complex_numIfEllS2_S2_S2_EEv20rocsparse_operation_S3_16rocsparse_order_S4_T4_S5_S5_T3_NS_24const_host_device_scalarIT2_EEPKT5_lPKT6_lS9_PT7_PKS6_SJ_21rocsparse_index_base_b,comdat
	.globl	_ZN9rocsparseL17sddmm_coox_kernelILi512ELi1ELb0E21rocsparse_complex_numIfEllS2_S2_S2_EEv20rocsparse_operation_S3_16rocsparse_order_S4_T4_S5_S5_T3_NS_24const_host_device_scalarIT2_EEPKT5_lPKT6_lS9_PT7_PKS6_SJ_21rocsparse_index_base_b ; -- Begin function _ZN9rocsparseL17sddmm_coox_kernelILi512ELi1ELb0E21rocsparse_complex_numIfEllS2_S2_S2_EEv20rocsparse_operation_S3_16rocsparse_order_S4_T4_S5_S5_T3_NS_24const_host_device_scalarIT2_EEPKT5_lPKT6_lS9_PT7_PKS6_SJ_21rocsparse_index_base_b
	.p2align	8
	.type	_ZN9rocsparseL17sddmm_coox_kernelILi512ELi1ELb0E21rocsparse_complex_numIfEllS2_S2_S2_EEv20rocsparse_operation_S3_16rocsparse_order_S4_T4_S5_S5_T3_NS_24const_host_device_scalarIT2_EEPKT5_lPKT6_lS9_PT7_PKS6_SJ_21rocsparse_index_base_b,@function
_ZN9rocsparseL17sddmm_coox_kernelILi512ELi1ELb0E21rocsparse_complex_numIfEllS2_S2_S2_EEv20rocsparse_operation_S3_16rocsparse_order_S4_T4_S5_S5_T3_NS_24const_host_device_scalarIT2_EEPKT5_lPKT6_lS9_PT7_PKS6_SJ_21rocsparse_index_base_b: ; @_ZN9rocsparseL17sddmm_coox_kernelILi512ELi1ELb0E21rocsparse_complex_numIfEllS2_S2_S2_EEv20rocsparse_operation_S3_16rocsparse_order_S4_T4_S5_S5_T3_NS_24const_host_device_scalarIT2_EEPKT5_lPKT6_lS9_PT7_PKS6_SJ_21rocsparse_index_base_b
; %bb.0:
	s_load_dwordx2 s[16:17], s[4:5], 0x78
	s_load_dwordx2 s[2:3], s[4:5], 0x30
	s_waitcnt lgkmcnt(0)
	s_bitcmp1_b32 s17, 0
	s_cselect_b64 s[0:1], -1, 0
	s_xor_b64 s[12:13], s[0:1], -1
	s_and_b64 vcc, exec, s[0:1]
	v_mov_b32_e32 v1, s2
	s_cbranch_vccnz .LBB44_2
; %bb.1:
	v_pk_mov_b32 v[2:3], s[2:3], s[2:3] op_sel:[0,1]
	flat_load_dword v1, v[2:3]
.LBB44_2:
	s_load_dwordx4 s[8:11], s[4:5], 0x50
	v_cndmask_b32_e64 v2, 0, 1, s[12:13]
	v_cmp_ne_u32_e64 s[0:1], 1, v2
	s_andn2_b64 vcc, exec, s[12:13]
	v_mov_b32_e32 v3, s3
	s_cbranch_vccz .LBB44_14
; %bb.3:
	s_and_b64 vcc, exec, s[0:1]
	s_waitcnt lgkmcnt(0)
	v_mov_b32_e32 v4, s10
	s_cbranch_vccz .LBB44_15
.LBB44_4:
	s_and_b64 vcc, exec, s[0:1]
	v_mov_b32_e32 v6, s11
	s_cbranch_vccnz .LBB44_6
.LBB44_5:
	v_pk_mov_b32 v[6:7], s[10:11], s[10:11] op_sel:[0,1]
	flat_load_dword v6, v[6:7] offset:4
.LBB44_6:
	s_waitcnt vmcnt(0)
	v_or_b32_e32 v2, v1, v3
	v_and_b32_e32 v2, 0x7fffffff, v2
	v_cmp_eq_u32_e32 vcc, 0, v2
	s_mov_b64 s[0:1], -1
	s_and_saveexec_b64 s[2:3], vcc
	s_cbranch_execz .LBB44_8
; %bb.7:
	s_waitcnt lgkmcnt(0)
	v_cmp_neq_f32_e32 vcc, 1.0, v4
	v_cmp_neq_f32_e64 s[0:1], 0, v6
	s_or_b64 s[0:1], vcc, s[0:1]
	s_orn2_b64 s[0:1], s[0:1], exec
.LBB44_8:
	s_or_b64 exec, exec, s[2:3]
	s_and_saveexec_b64 s[2:3], s[0:1]
	s_cbranch_execz .LBB44_32
; %bb.9:
	s_load_dwordx4 s[0:3], s[4:5], 0x20
	v_lshl_or_b32 v8, s6, 9, v0
	v_mov_b32_e32 v9, 0
	s_waitcnt lgkmcnt(0)
	v_cmp_gt_i64_e32 vcc, s[2:3], v[8:9]
	s_and_b64 exec, exec, vcc
	s_cbranch_execz .LBB44_32
; %bb.10:
	s_load_dwordx4 s[12:15], s[4:5], 0x68
	v_lshlrev_b64 v[8:9], 3, v[8:9]
	s_mov_b32 s17, 0
	s_waitcnt lgkmcnt(0)
	v_mov_b32_e32 v2, s13
	v_add_co_u32_e32 v10, vcc, s12, v8
	v_addc_co_u32_e32 v11, vcc, v2, v9, vcc
	global_load_dwordx2 v[10:11], v[10:11], off
	v_mov_b32_e32 v2, s15
	v_add_co_u32_e32 v12, vcc, s14, v8
	v_addc_co_u32_e32 v13, vcc, v2, v9, vcc
	global_load_dwordx2 v[12:13], v[12:13], off
	s_load_dwordx4 s[12:15], s[4:5], 0x0
	s_load_dwordx2 s[2:3], s[4:5], 0x40
	s_waitcnt lgkmcnt(0)
	s_cmp_eq_u32 s14, 1
	s_cselect_b64 s[6:7], -1, 0
	s_cmpk_eq_i32 s12, 0x6f
	s_cselect_b64 s[10:11], -1, 0
	s_cmpk_lg_i32 s12, 0x6f
	s_cselect_b64 s[18:19], -1, 0
	s_cmp_lg_u32 s14, 1
	s_waitcnt vmcnt(1)
	v_subrev_co_u32_e32 v14, vcc, s16, v10
	v_subbrev_co_u32_e32 v15, vcc, 0, v11, vcc
	s_cbranch_scc0 .LBB44_16
; %bb.11:
	s_andn2_b64 vcc, exec, s[10:11]
	v_pk_mov_b32 v[10:11], v[14:15], v[14:15] op_sel:[0,1]
	s_cbranch_vccnz .LBB44_13
; %bb.12:
	v_mul_lo_u32 v2, v15, s2
	v_mul_lo_u32 v5, v14, s3
	v_mad_u64_u32 v[10:11], s[20:21], v14, s2, 0
	v_add3_u32 v11, v11, v5, v2
.LBB44_13:
	s_cbranch_execz .LBB44_17
	s_branch .LBB44_20
.LBB44_14:
	v_pk_mov_b32 v[2:3], s[2:3], s[2:3] op_sel:[0,1]
	flat_load_dword v3, v[2:3] offset:4
	s_and_b64 vcc, exec, s[0:1]
	s_waitcnt lgkmcnt(0)
	v_mov_b32_e32 v4, s10
	s_cbranch_vccnz .LBB44_4
.LBB44_15:
	v_pk_mov_b32 v[4:5], s[10:11], s[10:11] op_sel:[0,1]
	flat_load_dword v4, v[4:5]
	s_and_b64 vcc, exec, s[0:1]
	v_mov_b32_e32 v6, s11
	s_cbranch_vccz .LBB44_5
	s_branch .LBB44_6
.LBB44_16:
                                        ; implicit-def: $vgpr10_vgpr11
.LBB44_17:
	s_andn2_b64 vcc, exec, s[18:19]
	s_cbranch_vccnz .LBB44_19
; %bb.18:
	v_mul_lo_u32 v2, v15, s2
	v_mul_lo_u32 v5, v14, s3
	v_mad_u64_u32 v[14:15], s[18:19], v14, s2, 0
	v_add3_u32 v15, v15, v5, v2
.LBB44_19:
	v_pk_mov_b32 v[10:11], v[14:15], v[14:15] op_sel:[0,1]
.LBB44_20:
	s_cmp_eq_u32 s15, 1
	s_cselect_b64 s[18:19], -1, 0
	s_cmpk_eq_i32 s13, 0x6f
	v_mov_b32_e32 v2, s17
	s_cselect_b64 s[20:21], -1, 0
	s_cmpk_lg_i32 s13, 0x6f
	s_waitcnt vmcnt(0)
	v_subrev_co_u32_e32 v14, vcc, s16, v12
	s_cselect_b64 s[12:13], -1, 0
	s_cmp_lg_u32 s15, 1
	v_subb_co_u32_e32 v15, vcc, v13, v2, vcc
	s_cbranch_scc0 .LBB44_24
; %bb.21:
	s_andn2_b64 vcc, exec, s[12:13]
	v_pk_mov_b32 v[12:13], v[14:15], v[14:15] op_sel:[0,1]
	s_cbranch_vccnz .LBB44_23
; %bb.22:
	v_mul_lo_u32 v2, v15, s8
	v_mul_lo_u32 v5, v14, s9
	v_mad_u64_u32 v[12:13], s[12:13], v14, s8, 0
	v_add3_u32 v13, v13, v5, v2
.LBB44_23:
	s_cbranch_execz .LBB44_25
	s_branch .LBB44_28
.LBB44_24:
                                        ; implicit-def: $vgpr12_vgpr13
.LBB44_25:
	s_andn2_b64 vcc, exec, s[20:21]
	s_cbranch_vccnz .LBB44_27
; %bb.26:
	v_mul_lo_u32 v2, v15, s8
	v_mul_lo_u32 v5, v14, s9
	v_mad_u64_u32 v[14:15], s[12:13], v14, s8, 0
	v_add3_u32 v15, v15, v5, v2
.LBB44_27:
	v_pk_mov_b32 v[12:13], v[14:15], v[14:15] op_sel:[0,1]
.LBB44_28:
	s_load_dwordx2 s[12:13], s[4:5], 0x60
	v_cmp_lt_i64_e64 s[14:15], s[0:1], 1
	v_mov_b32_e32 v15, 0
	s_and_b64 vcc, exec, s[14:15]
	v_mov_b32_e32 v14, v15
	s_cbranch_vccnz .LBB44_31
; %bb.29:
	s_load_dwordx2 s[14:15], s[4:5], 0x38
	s_load_dwordx2 s[16:17], s[4:5], 0x48
	v_lshlrev_b64 v[10:11], 3, v[10:11]
	s_xor_b64 s[4:5], s[10:11], s[6:7]
	s_and_b64 s[4:5], s[4:5], exec
	s_waitcnt lgkmcnt(0)
	v_mov_b32_e32 v2, s15
	v_add_co_u32_e32 v10, vcc, s14, v10
	v_addc_co_u32_e32 v11, vcc, v2, v11, vcc
	s_cselect_b32 s5, 0, s3
	s_cselect_b32 s4, 1, s2
	s_xor_b64 s[2:3], s[20:21], s[18:19]
	v_lshlrev_b64 v[12:13], 3, v[12:13]
	s_and_b64 s[2:3], s[2:3], exec
	v_mov_b32_e32 v2, s17
	v_add_co_u32_e32 v5, vcc, s16, v12
	s_cselect_b32 s3, s9, 0
	s_cselect_b32 s2, s8, 1
	v_addc_co_u32_e32 v2, vcc, v13, v2, vcc
	v_add_co_u32_e32 v12, vcc, 4, v5
	s_lshl_b64 s[2:3], s[2:3], 3
	s_lshl_b64 s[4:5], s[4:5], 3
	v_mov_b32_e32 v14, 0
	v_addc_co_u32_e32 v13, vcc, 0, v2, vcc
	v_mov_b32_e32 v2, s3
	v_mov_b32_e32 v5, s5
	;; [unrolled: 1-line block ×3, first 2 shown]
.LBB44_30:                              ; =>This Inner Loop Header: Depth=1
	global_load_dwordx2 v[16:17], v[10:11], off
	global_load_dwordx2 v[18:19], v[12:13], off offset:-4
	v_add_co_u32_e32 v12, vcc, s2, v12
	s_add_u32 s0, s0, -1
	v_addc_co_u32_e32 v13, vcc, v13, v2, vcc
	v_add_co_u32_e32 v10, vcc, s4, v10
	s_addc_u32 s1, s1, -1
	v_addc_co_u32_e32 v11, vcc, v11, v5, vcc
	s_cmp_eq_u64 s[0:1], 0
	s_waitcnt vmcnt(0)
	v_pk_mul_f32 v[20:21], v[18:19], v[16:17] op_sel:[1,1] op_sel_hi:[1,0] neg_lo:[0,1]
	v_pk_fma_f32 v[16:17], v[16:17], v[18:19], v[20:21] op_sel_hi:[1,0,1]
	v_pk_add_f32 v[14:15], v[14:15], v[16:17]
	s_cbranch_scc0 .LBB44_30
.LBB44_31:
	s_waitcnt lgkmcnt(0)
	v_mov_b32_e32 v2, s13
	v_add_co_u32_e32 v8, vcc, s12, v8
	v_lshlrev_b32_e32 v0, 3, v0
	v_addc_co_u32_e32 v9, vcc, v2, v9, vcc
	ds_write_b64 v0, v[14:15]
	s_waitcnt lgkmcnt(0)
	s_barrier
	global_load_dwordx2 v[10:11], v[8:9], off
	ds_read_b64 v[12:13], v0
	v_xor_b32_e32 v15, 0x80000000, v3
	s_waitcnt lgkmcnt(0)
	v_mov_b32_e32 v7, v13
	v_mov_b32_e32 v5, v12
	s_waitcnt vmcnt(0)
	v_mov_b32_e32 v14, v10
	v_mov_b32_e32 v0, v11
	v_pk_mul_f32 v[12:13], v[6:7], v[14:15]
	v_pk_fma_f32 v[12:13], v[0:1], v[4:5], v[12:13]
	v_xor_b32_e32 v0, 0x80000000, v11
	v_mov_b32_e32 v2, v10
	v_pk_mul_f32 v[0:1], v[6:7], v[0:1]
	v_pk_fma_f32 v[0:1], v[2:3], v[4:5], v[0:1]
	v_pk_add_f32 v[0:1], v[12:13], v[0:1] op_sel:[0,1] op_sel_hi:[1,0]
	v_mov_b32_e32 v2, v1
	v_mov_b32_e32 v3, v0
	global_store_dwordx2 v[8:9], v[2:3], off
.LBB44_32:
	s_endpgm
	.section	.rodata,"a",@progbits
	.p2align	6, 0x0
	.amdhsa_kernel _ZN9rocsparseL17sddmm_coox_kernelILi512ELi1ELb0E21rocsparse_complex_numIfEllS2_S2_S2_EEv20rocsparse_operation_S3_16rocsparse_order_S4_T4_S5_S5_T3_NS_24const_host_device_scalarIT2_EEPKT5_lPKT6_lS9_PT7_PKS6_SJ_21rocsparse_index_base_b
		.amdhsa_group_segment_fixed_size 4096
		.amdhsa_private_segment_fixed_size 0
		.amdhsa_kernarg_size 128
		.amdhsa_user_sgpr_count 6
		.amdhsa_user_sgpr_private_segment_buffer 1
		.amdhsa_user_sgpr_dispatch_ptr 0
		.amdhsa_user_sgpr_queue_ptr 0
		.amdhsa_user_sgpr_kernarg_segment_ptr 1
		.amdhsa_user_sgpr_dispatch_id 0
		.amdhsa_user_sgpr_flat_scratch_init 0
		.amdhsa_user_sgpr_kernarg_preload_length 0
		.amdhsa_user_sgpr_kernarg_preload_offset 0
		.amdhsa_user_sgpr_private_segment_size 0
		.amdhsa_uses_dynamic_stack 0
		.amdhsa_system_sgpr_private_segment_wavefront_offset 0
		.amdhsa_system_sgpr_workgroup_id_x 1
		.amdhsa_system_sgpr_workgroup_id_y 0
		.amdhsa_system_sgpr_workgroup_id_z 0
		.amdhsa_system_sgpr_workgroup_info 0
		.amdhsa_system_vgpr_workitem_id 0
		.amdhsa_next_free_vgpr 22
		.amdhsa_next_free_sgpr 22
		.amdhsa_accum_offset 24
		.amdhsa_reserve_vcc 1
		.amdhsa_reserve_flat_scratch 0
		.amdhsa_float_round_mode_32 0
		.amdhsa_float_round_mode_16_64 0
		.amdhsa_float_denorm_mode_32 3
		.amdhsa_float_denorm_mode_16_64 3
		.amdhsa_dx10_clamp 1
		.amdhsa_ieee_mode 1
		.amdhsa_fp16_overflow 0
		.amdhsa_tg_split 0
		.amdhsa_exception_fp_ieee_invalid_op 0
		.amdhsa_exception_fp_denorm_src 0
		.amdhsa_exception_fp_ieee_div_zero 0
		.amdhsa_exception_fp_ieee_overflow 0
		.amdhsa_exception_fp_ieee_underflow 0
		.amdhsa_exception_fp_ieee_inexact 0
		.amdhsa_exception_int_div_zero 0
	.end_amdhsa_kernel
	.section	.text._ZN9rocsparseL17sddmm_coox_kernelILi512ELi1ELb0E21rocsparse_complex_numIfEllS2_S2_S2_EEv20rocsparse_operation_S3_16rocsparse_order_S4_T4_S5_S5_T3_NS_24const_host_device_scalarIT2_EEPKT5_lPKT6_lS9_PT7_PKS6_SJ_21rocsparse_index_base_b,"axG",@progbits,_ZN9rocsparseL17sddmm_coox_kernelILi512ELi1ELb0E21rocsparse_complex_numIfEllS2_S2_S2_EEv20rocsparse_operation_S3_16rocsparse_order_S4_T4_S5_S5_T3_NS_24const_host_device_scalarIT2_EEPKT5_lPKT6_lS9_PT7_PKS6_SJ_21rocsparse_index_base_b,comdat
.Lfunc_end44:
	.size	_ZN9rocsparseL17sddmm_coox_kernelILi512ELi1ELb0E21rocsparse_complex_numIfEllS2_S2_S2_EEv20rocsparse_operation_S3_16rocsparse_order_S4_T4_S5_S5_T3_NS_24const_host_device_scalarIT2_EEPKT5_lPKT6_lS9_PT7_PKS6_SJ_21rocsparse_index_base_b, .Lfunc_end44-_ZN9rocsparseL17sddmm_coox_kernelILi512ELi1ELb0E21rocsparse_complex_numIfEllS2_S2_S2_EEv20rocsparse_operation_S3_16rocsparse_order_S4_T4_S5_S5_T3_NS_24const_host_device_scalarIT2_EEPKT5_lPKT6_lS9_PT7_PKS6_SJ_21rocsparse_index_base_b
                                        ; -- End function
	.section	.AMDGPU.csdata,"",@progbits
; Kernel info:
; codeLenInByte = 1080
; NumSgprs: 26
; NumVgprs: 22
; NumAgprs: 0
; TotalNumVgprs: 22
; ScratchSize: 0
; MemoryBound: 0
; FloatMode: 240
; IeeeMode: 1
; LDSByteSize: 4096 bytes/workgroup (compile time only)
; SGPRBlocks: 3
; VGPRBlocks: 2
; NumSGPRsForWavesPerEU: 26
; NumVGPRsForWavesPerEU: 22
; AccumOffset: 24
; Occupancy: 8
; WaveLimiterHint : 0
; COMPUTE_PGM_RSRC2:SCRATCH_EN: 0
; COMPUTE_PGM_RSRC2:USER_SGPR: 6
; COMPUTE_PGM_RSRC2:TRAP_HANDLER: 0
; COMPUTE_PGM_RSRC2:TGID_X_EN: 1
; COMPUTE_PGM_RSRC2:TGID_Y_EN: 0
; COMPUTE_PGM_RSRC2:TGID_Z_EN: 0
; COMPUTE_PGM_RSRC2:TIDIG_COMP_CNT: 0
; COMPUTE_PGM_RSRC3_GFX90A:ACCUM_OFFSET: 5
; COMPUTE_PGM_RSRC3_GFX90A:TG_SPLIT: 0
	.section	.text._ZN9rocsparseL24sddmm_coox_sample_kernelILi512ELb0E21rocsparse_complex_numIdEllS2_EEvT3_S3_T2_PKT4_S3_PS5_PKS4_SA_21rocsparse_index_base_,"axG",@progbits,_ZN9rocsparseL24sddmm_coox_sample_kernelILi512ELb0E21rocsparse_complex_numIdEllS2_EEvT3_S3_T2_PKT4_S3_PS5_PKS4_SA_21rocsparse_index_base_,comdat
	.globl	_ZN9rocsparseL24sddmm_coox_sample_kernelILi512ELb0E21rocsparse_complex_numIdEllS2_EEvT3_S3_T2_PKT4_S3_PS5_PKS4_SA_21rocsparse_index_base_ ; -- Begin function _ZN9rocsparseL24sddmm_coox_sample_kernelILi512ELb0E21rocsparse_complex_numIdEllS2_EEvT3_S3_T2_PKT4_S3_PS5_PKS4_SA_21rocsparse_index_base_
	.p2align	8
	.type	_ZN9rocsparseL24sddmm_coox_sample_kernelILi512ELb0E21rocsparse_complex_numIdEllS2_EEvT3_S3_T2_PKT4_S3_PS5_PKS4_SA_21rocsparse_index_base_,@function
_ZN9rocsparseL24sddmm_coox_sample_kernelILi512ELb0E21rocsparse_complex_numIdEllS2_EEvT3_S3_T2_PKT4_S3_PS5_PKS4_SA_21rocsparse_index_base_: ; @_ZN9rocsparseL24sddmm_coox_sample_kernelILi512ELb0E21rocsparse_complex_numIdEllS2_EEvT3_S3_T2_PKT4_S3_PS5_PKS4_SA_21rocsparse_index_base_
; %bb.0:
	s_load_dwordx2 s[2:3], s[4:5], 0x10
	v_lshl_or_b32 v0, s6, 9, v0
	v_mov_b32_e32 v1, 0
	s_waitcnt lgkmcnt(0)
	v_cmp_gt_i64_e32 vcc, s[2:3], v[0:1]
	s_and_saveexec_b64 s[0:1], vcc
	s_cbranch_execz .LBB45_3
; %bb.1:
	s_load_dword s0, s[4:5], 0x48
	s_load_dwordx2 s[6:7], s[4:5], 0x38
	s_load_dword s16, s[4:5], 0x40
	s_load_dwordx8 s[8:15], s[4:5], 0x18
	s_mov_b32 s1, 0
	s_waitcnt lgkmcnt(0)
	s_lshl_b32 s17, s0, 9
	v_pk_mov_b32 v[2:3], v[0:1], v[0:1] op_sel:[0,1]
	v_add_u32_e32 v0, s17, v0
	s_mov_b64 s[4:5], 0
	v_mov_b32_e32 v4, s15
	v_mov_b32_e32 v5, s1
	;; [unrolled: 1-line block ×5, first 2 shown]
.LBB45_2:                               ; =>This Inner Loop Header: Depth=1
	v_lshlrev_b64 v[10:11], 3, v[2:3]
	v_add_co_u32_e32 v12, vcc, s14, v10
	v_addc_co_u32_e32 v13, vcc, v4, v11, vcc
	v_add_co_u32_e32 v10, vcc, s6, v10
	v_addc_co_u32_e32 v11, vcc, v6, v11, vcc
	global_load_dwordx2 v[14:15], v[10:11], off
	global_load_dwordx2 v[16:17], v[12:13], off
	s_waitcnt vmcnt(0)
	v_subrev_co_u32_e32 v10, vcc, s16, v16
	v_subb_co_u32_e32 v11, vcc, v17, v5, vcc
	v_subrev_co_u32_e32 v9, vcc, s16, v14
	v_subb_co_u32_e32 v12, vcc, v15, v5, vcc
	v_mul_lo_u32 v14, v12, s10
	v_mul_lo_u32 v15, v9, s11
	v_mad_u64_u32 v[12:13], s[0:1], v9, s10, 0
	v_add3_u32 v13, v13, v15, v14
	v_lshlrev_b64 v[12:13], 4, v[12:13]
	v_add_co_u32_e32 v9, vcc, s8, v12
	v_lshlrev_b64 v[10:11], 4, v[10:11]
	v_addc_co_u32_e32 v12, vcc, v7, v13, vcc
	v_add_co_u32_e32 v10, vcc, v9, v10
	v_addc_co_u32_e32 v11, vcc, v12, v11, vcc
	global_load_dwordx4 v[10:13], v[10:11], off
	v_lshlrev_b64 v[14:15], 4, v[2:3]
	v_cmp_le_u64_e32 vcc, s[2:3], v[0:1]
	v_add_co_u32_e64 v14, s[0:1], s12, v14
	v_pk_mov_b32 v[2:3], v[0:1], v[0:1] op_sel:[0,1]
	v_add_u32_e32 v0, s17, v0
	v_addc_co_u32_e64 v15, s[0:1], v8, v15, s[0:1]
	s_or_b64 s[4:5], vcc, s[4:5]
	s_waitcnt vmcnt(0)
	global_store_dwordx4 v[14:15], v[10:13], off
	s_andn2_b64 exec, exec, s[4:5]
	s_cbranch_execnz .LBB45_2
.LBB45_3:
	s_endpgm
	.section	.rodata,"a",@progbits
	.p2align	6, 0x0
	.amdhsa_kernel _ZN9rocsparseL24sddmm_coox_sample_kernelILi512ELb0E21rocsparse_complex_numIdEllS2_EEvT3_S3_T2_PKT4_S3_PS5_PKS4_SA_21rocsparse_index_base_
		.amdhsa_group_segment_fixed_size 0
		.amdhsa_private_segment_fixed_size 0
		.amdhsa_kernarg_size 328
		.amdhsa_user_sgpr_count 6
		.amdhsa_user_sgpr_private_segment_buffer 1
		.amdhsa_user_sgpr_dispatch_ptr 0
		.amdhsa_user_sgpr_queue_ptr 0
		.amdhsa_user_sgpr_kernarg_segment_ptr 1
		.amdhsa_user_sgpr_dispatch_id 0
		.amdhsa_user_sgpr_flat_scratch_init 0
		.amdhsa_user_sgpr_kernarg_preload_length 0
		.amdhsa_user_sgpr_kernarg_preload_offset 0
		.amdhsa_user_sgpr_private_segment_size 0
		.amdhsa_uses_dynamic_stack 0
		.amdhsa_system_sgpr_private_segment_wavefront_offset 0
		.amdhsa_system_sgpr_workgroup_id_x 1
		.amdhsa_system_sgpr_workgroup_id_y 0
		.amdhsa_system_sgpr_workgroup_id_z 0
		.amdhsa_system_sgpr_workgroup_info 0
		.amdhsa_system_vgpr_workitem_id 0
		.amdhsa_next_free_vgpr 18
		.amdhsa_next_free_sgpr 18
		.amdhsa_accum_offset 20
		.amdhsa_reserve_vcc 1
		.amdhsa_reserve_flat_scratch 0
		.amdhsa_float_round_mode_32 0
		.amdhsa_float_round_mode_16_64 0
		.amdhsa_float_denorm_mode_32 3
		.amdhsa_float_denorm_mode_16_64 3
		.amdhsa_dx10_clamp 1
		.amdhsa_ieee_mode 1
		.amdhsa_fp16_overflow 0
		.amdhsa_tg_split 0
		.amdhsa_exception_fp_ieee_invalid_op 0
		.amdhsa_exception_fp_denorm_src 0
		.amdhsa_exception_fp_ieee_div_zero 0
		.amdhsa_exception_fp_ieee_overflow 0
		.amdhsa_exception_fp_ieee_underflow 0
		.amdhsa_exception_fp_ieee_inexact 0
		.amdhsa_exception_int_div_zero 0
	.end_amdhsa_kernel
	.section	.text._ZN9rocsparseL24sddmm_coox_sample_kernelILi512ELb0E21rocsparse_complex_numIdEllS2_EEvT3_S3_T2_PKT4_S3_PS5_PKS4_SA_21rocsparse_index_base_,"axG",@progbits,_ZN9rocsparseL24sddmm_coox_sample_kernelILi512ELb0E21rocsparse_complex_numIdEllS2_EEvT3_S3_T2_PKT4_S3_PS5_PKS4_SA_21rocsparse_index_base_,comdat
.Lfunc_end45:
	.size	_ZN9rocsparseL24sddmm_coox_sample_kernelILi512ELb0E21rocsparse_complex_numIdEllS2_EEvT3_S3_T2_PKT4_S3_PS5_PKS4_SA_21rocsparse_index_base_, .Lfunc_end45-_ZN9rocsparseL24sddmm_coox_sample_kernelILi512ELb0E21rocsparse_complex_numIdEllS2_EEvT3_S3_T2_PKT4_S3_PS5_PKS4_SA_21rocsparse_index_base_
                                        ; -- End function
	.section	.AMDGPU.csdata,"",@progbits
; Kernel info:
; codeLenInByte = 316
; NumSgprs: 22
; NumVgprs: 18
; NumAgprs: 0
; TotalNumVgprs: 18
; ScratchSize: 0
; MemoryBound: 0
; FloatMode: 240
; IeeeMode: 1
; LDSByteSize: 0 bytes/workgroup (compile time only)
; SGPRBlocks: 2
; VGPRBlocks: 2
; NumSGPRsForWavesPerEU: 22
; NumVGPRsForWavesPerEU: 18
; AccumOffset: 20
; Occupancy: 8
; WaveLimiterHint : 0
; COMPUTE_PGM_RSRC2:SCRATCH_EN: 0
; COMPUTE_PGM_RSRC2:USER_SGPR: 6
; COMPUTE_PGM_RSRC2:TRAP_HANDLER: 0
; COMPUTE_PGM_RSRC2:TGID_X_EN: 1
; COMPUTE_PGM_RSRC2:TGID_Y_EN: 0
; COMPUTE_PGM_RSRC2:TGID_Z_EN: 0
; COMPUTE_PGM_RSRC2:TIDIG_COMP_CNT: 0
; COMPUTE_PGM_RSRC3_GFX90A:ACCUM_OFFSET: 4
; COMPUTE_PGM_RSRC3_GFX90A:TG_SPLIT: 0
	.section	.text._ZN9rocsparseL17sddmm_coox_kernelILi512ELi8ELb0E21rocsparse_complex_numIdEllS2_S2_S2_EEv20rocsparse_operation_S3_16rocsparse_order_S4_T4_S5_S5_T3_NS_24const_host_device_scalarIT2_EEPKT5_lPKT6_lS9_PT7_PKS6_SJ_21rocsparse_index_base_b,"axG",@progbits,_ZN9rocsparseL17sddmm_coox_kernelILi512ELi8ELb0E21rocsparse_complex_numIdEllS2_S2_S2_EEv20rocsparse_operation_S3_16rocsparse_order_S4_T4_S5_S5_T3_NS_24const_host_device_scalarIT2_EEPKT5_lPKT6_lS9_PT7_PKS6_SJ_21rocsparse_index_base_b,comdat
	.globl	_ZN9rocsparseL17sddmm_coox_kernelILi512ELi8ELb0E21rocsparse_complex_numIdEllS2_S2_S2_EEv20rocsparse_operation_S3_16rocsparse_order_S4_T4_S5_S5_T3_NS_24const_host_device_scalarIT2_EEPKT5_lPKT6_lS9_PT7_PKS6_SJ_21rocsparse_index_base_b ; -- Begin function _ZN9rocsparseL17sddmm_coox_kernelILi512ELi8ELb0E21rocsparse_complex_numIdEllS2_S2_S2_EEv20rocsparse_operation_S3_16rocsparse_order_S4_T4_S5_S5_T3_NS_24const_host_device_scalarIT2_EEPKT5_lPKT6_lS9_PT7_PKS6_SJ_21rocsparse_index_base_b
	.p2align	8
	.type	_ZN9rocsparseL17sddmm_coox_kernelILi512ELi8ELb0E21rocsparse_complex_numIdEllS2_S2_S2_EEv20rocsparse_operation_S3_16rocsparse_order_S4_T4_S5_S5_T3_NS_24const_host_device_scalarIT2_EEPKT5_lPKT6_lS9_PT7_PKS6_SJ_21rocsparse_index_base_b,@function
_ZN9rocsparseL17sddmm_coox_kernelILi512ELi8ELb0E21rocsparse_complex_numIdEllS2_S2_S2_EEv20rocsparse_operation_S3_16rocsparse_order_S4_T4_S5_S5_T3_NS_24const_host_device_scalarIT2_EEPKT5_lPKT6_lS9_PT7_PKS6_SJ_21rocsparse_index_base_b: ; @_ZN9rocsparseL17sddmm_coox_kernelILi512ELi8ELb0E21rocsparse_complex_numIdEllS2_S2_S2_EEv20rocsparse_operation_S3_16rocsparse_order_S4_T4_S5_S5_T3_NS_24const_host_device_scalarIT2_EEPKT5_lPKT6_lS9_PT7_PKS6_SJ_21rocsparse_index_base_b
; %bb.0:
	s_load_dwordx2 s[10:11], s[6:7], 0x88
	s_load_dwordx8 s[12:19], s[6:7], 0x20
	s_load_dwordx4 s[20:23], s[6:7], 0x58
	s_load_dwordx2 s[2:3], s[6:7], 0x68
	s_mov_b64 s[24:25], src_shared_base
	s_load_dwordx2 s[4:5], s[4:5], 0x4
	s_waitcnt lgkmcnt(0)
	s_bitcmp1_b32 s11, 0
	s_cselect_b64 s[0:1], -1, 0
	s_and_b64 vcc, s[0:1], exec
	s_cselect_b32 s9, s25, s17
	s_lshr_b32 s4, s4, 16
	v_and_b32_e32 v14, 0x3ff, v0
	s_mul_i32 s4, s4, s5
	v_mul_lo_u32 v1, s4, v14
	v_bfe_u32 v2, v0, 10, 10
	v_mad_u32_u24 v1, v2, s5, v1
	v_bfe_u32 v0, v0, 20, 10
	v_add_lshl_u32 v6, v1, v0, 3
	v_mov_b32_e32 v4, s16
	v_add_u32_e32 v5, 0x3000, v6
	v_pk_mov_b32 v[0:1], s[16:17], s[16:17] op_sel:[0,1]
	v_pk_mov_b32 v[2:3], s[22:23], s[22:23] op_sel:[0,1]
	ds_write2st64_b64 v6, v[2:3], v[0:1] offset0:16 offset1:24
	v_cndmask_b32_e64 v0, v4, v5, s[0:1]
	v_mov_b32_e32 v1, s9
	flat_load_dwordx2 v[4:5], v[0:1]
	s_xor_b64 s[4:5], s[0:1], -1
	v_add_u32_e32 v0, 0x2000, v6
	v_pk_mov_b32 v[6:7], s[18:19], s[18:19] op_sel:[0,1]
	s_cbranch_vccnz .LBB46_2
; %bb.1:
	v_pk_mov_b32 v[2:3], s[16:17], s[16:17] op_sel:[0,1]
	flat_load_dwordx2 v[6:7], v[2:3] offset:8
.LBB46_2:
	s_and_b64 s[16:17], s[0:1], exec
	s_cselect_b32 s9, s25, s23
	v_mov_b32_e32 v1, s22
	v_cndmask_b32_e64 v0, v1, v0, s[0:1]
	v_mov_b32_e32 v1, s9
	flat_load_dwordx2 v[8:9], v[0:1]
	s_andn2_b64 vcc, exec, s[4:5]
	v_pk_mov_b32 v[10:11], s[2:3], s[2:3] op_sel:[0,1]
	s_cbranch_vccnz .LBB46_4
; %bb.3:
	v_pk_mov_b32 v[0:1], s[22:23], s[22:23] op_sel:[0,1]
	flat_load_dwordx2 v[10:11], v[0:1] offset:8
.LBB46_4:
	s_waitcnt vmcnt(0) lgkmcnt(0)
	v_cmp_eq_f64_e32 vcc, 0, v[4:5]
	v_cmp_eq_f64_e64 s[0:1], 0, v[6:7]
	s_and_b64 s[4:5], vcc, s[0:1]
	s_mov_b64 s[0:1], -1
	s_and_saveexec_b64 s[2:3], s[4:5]
; %bb.5:
	v_cmp_neq_f64_e32 vcc, 1.0, v[8:9]
	v_cmp_neq_f64_e64 s[0:1], 0, v[10:11]
	s_or_b64 s[0:1], vcc, s[0:1]
	s_orn2_b64 s[0:1], s[0:1], exec
; %bb.6:
	s_or_b64 exec, exec, s[2:3]
	s_and_saveexec_b64 s[2:3], s[0:1]
	s_cbranch_execz .LBB46_36
; %bb.7:
	v_lshrrev_b32_e32 v22, 3, v14
	v_lshl_or_b32 v12, s8, 6, v22
	v_mov_b32_e32 v13, 0
	v_cmp_gt_i64_e32 vcc, s[14:15], v[12:13]
	s_and_b64 exec, exec, vcc
	s_cbranch_execz .LBB46_36
; %bb.8:
	s_load_dwordx4 s[0:3], s[6:7], 0x78
	v_lshlrev_b64 v[0:1], 3, v[12:13]
	s_mov_b32 s11, 0
	s_waitcnt lgkmcnt(0)
	v_mov_b32_e32 v3, s1
	v_add_co_u32_e32 v2, vcc, s0, v0
	v_addc_co_u32_e32 v3, vcc, v3, v1, vcc
	global_load_dwordx2 v[2:3], v[2:3], off
	v_mov_b32_e32 v15, s3
	v_add_co_u32_e32 v0, vcc, s2, v0
	v_addc_co_u32_e32 v1, vcc, v15, v1, vcc
	global_load_dwordx2 v[0:1], v[0:1], off
	s_load_dwordx4 s[0:3], s[6:7], 0x0
	s_load_dwordx2 s[4:5], s[6:7], 0x48
	s_waitcnt lgkmcnt(0)
	s_cmp_eq_u32 s2, 1
	s_cselect_b64 s[8:9], -1, 0
	s_cmpk_eq_i32 s0, 0x6f
	s_cselect_b64 s[14:15], -1, 0
	s_cmpk_lg_i32 s0, 0x6f
	s_cselect_b64 s[16:17], -1, 0
	s_cmp_lg_u32 s2, 1
	s_waitcnt vmcnt(1)
	v_subrev_co_u32_e32 v2, vcc, s10, v2
	v_subbrev_co_u32_e32 v3, vcc, 0, v3, vcc
	s_cbranch_scc0 .LBB46_12
; %bb.9:
	s_andn2_b64 vcc, exec, s[14:15]
	v_pk_mov_b32 v[16:17], v[2:3], v[2:3] op_sel:[0,1]
	s_cbranch_vccnz .LBB46_11
; %bb.10:
	v_mul_lo_u32 v15, v3, s4
	v_mul_lo_u32 v18, v2, s5
	v_mad_u64_u32 v[16:17], s[18:19], v2, s4, 0
	v_add3_u32 v17, v17, v18, v15
.LBB46_11:
	s_cbranch_execz .LBB46_13
	s_branch .LBB46_16
.LBB46_12:
                                        ; implicit-def: $vgpr16_vgpr17
.LBB46_13:
	s_andn2_b64 vcc, exec, s[16:17]
	s_cbranch_vccnz .LBB46_15
; %bb.14:
	v_mul_lo_u32 v15, v3, s4
	v_mul_lo_u32 v16, v2, s5
	v_mad_u64_u32 v[2:3], s[16:17], v2, s4, 0
	v_add3_u32 v3, v3, v16, v15
.LBB46_15:
	v_pk_mov_b32 v[16:17], v[2:3], v[2:3] op_sel:[0,1]
.LBB46_16:
	s_cmp_eq_u32 s3, 1
	s_cselect_b64 s[16:17], -1, 0
	s_cmpk_eq_i32 s1, 0x6f
	v_mov_b32_e32 v2, s11
	s_cselect_b64 s[18:19], -1, 0
	s_cmpk_lg_i32 s1, 0x6f
	s_waitcnt vmcnt(0)
	v_subrev_co_u32_e32 v0, vcc, s10, v0
	s_cselect_b64 s[0:1], -1, 0
	s_cmp_lg_u32 s3, 1
	v_subb_co_u32_e32 v1, vcc, v1, v2, vcc
	s_cbranch_scc0 .LBB46_20
; %bb.17:
	s_andn2_b64 vcc, exec, s[0:1]
	v_pk_mov_b32 v[18:19], v[0:1], v[0:1] op_sel:[0,1]
	s_cbranch_vccnz .LBB46_19
; %bb.18:
	v_mul_lo_u32 v2, v1, s20
	v_mul_lo_u32 v3, v0, s21
	v_mad_u64_u32 v[18:19], s[0:1], v0, s20, 0
	v_add3_u32 v19, v19, v3, v2
.LBB46_19:
	s_cbranch_execz .LBB46_21
	s_branch .LBB46_24
.LBB46_20:
                                        ; implicit-def: $vgpr18_vgpr19
.LBB46_21:
	s_andn2_b64 vcc, exec, s[18:19]
	s_cbranch_vccnz .LBB46_23
; %bb.22:
	v_mul_lo_u32 v2, v1, s20
	v_mul_lo_u32 v3, v0, s21
	v_mad_u64_u32 v[0:1], s[0:1], v0, s20, 0
	v_add3_u32 v1, v1, v3, v2
.LBB46_23:
	v_pk_mov_b32 v[18:19], v[0:1], v[0:1] op_sel:[0,1]
.LBB46_24:
	s_load_dwordx2 s[0:1], s[6:7], 0x70
	v_and_b32_e32 v14, 7, v14
	v_mov_b32_e32 v15, 0
	v_pk_mov_b32 v[2:3], 0, 0
	v_cmp_gt_i64_e32 vcc, s[12:13], v[14:15]
	v_pk_mov_b32 v[0:1], v[2:3], v[2:3] op_sel:[0,1]
	s_and_saveexec_b64 s[2:3], vcc
	s_cbranch_execz .LBB46_28
; %bb.25:
	s_load_dwordx2 s[10:11], s[6:7], 0x40
	s_load_dwordx2 s[22:23], s[6:7], 0x50
	s_xor_b64 s[6:7], s[14:15], s[8:9]
	s_and_b64 s[6:7], s[6:7], exec
	s_cselect_b32 s4, 1, s4
	v_mad_u64_u32 v[0:1], s[8:9], s4, v14, 0
	s_cselect_b32 s5, 0, s5
	v_mov_b32_e32 v2, v1
	v_mad_u64_u32 v[2:3], s[8:9], s5, v14, v[2:3]
	v_mov_b32_e32 v1, v2
	v_lshlrev_b64 v[0:1], 4, v[0:1]
	v_lshlrev_b64 v[2:3], 4, v[16:17]
	v_add_co_u32_e32 v0, vcc, v0, v2
	v_addc_co_u32_e32 v1, vcc, v1, v3, vcc
	s_xor_b64 s[6:7], s[18:19], s[16:17]
	s_waitcnt lgkmcnt(0)
	v_mov_b32_e32 v2, s11
	v_add_co_u32_e32 v0, vcc, s10, v0
	s_and_b64 s[6:7], s[6:7], exec
	v_addc_co_u32_e32 v1, vcc, v1, v2, vcc
	s_cselect_b32 s6, s20, 1
	v_add_co_u32_e32 v16, vcc, 8, v0
	v_addc_co_u32_e32 v17, vcc, 0, v1, vcc
	v_mad_u64_u32 v[0:1], s[8:9], s6, v14, 0
	s_cselect_b32 s7, s21, 0
	v_mov_b32_e32 v2, v1
	v_mad_u64_u32 v[2:3], s[8:9], s7, v14, v[2:3]
	v_mov_b32_e32 v1, v2
	v_lshlrev_b64 v[0:1], 4, v[0:1]
	v_lshlrev_b64 v[2:3], 4, v[18:19]
	v_add_co_u32_e32 v0, vcc, v0, v2
	v_addc_co_u32_e32 v1, vcc, v1, v3, vcc
	v_mov_b32_e32 v2, s23
	v_add_co_u32_e32 v0, vcc, s22, v0
	v_addc_co_u32_e32 v1, vcc, v1, v2, vcc
	s_lshl_b64 s[4:5], s[4:5], 7
	v_add_co_u32_e32 v18, vcc, 8, v0
	s_lshl_b64 s[8:9], s[6:7], 7
	v_pk_mov_b32 v[2:3], 0, 0
	v_addc_co_u32_e32 v19, vcc, 0, v1, vcc
	s_mov_b64 s[6:7], 0
	v_mov_b32_e32 v23, s5
	v_mov_b32_e32 v24, s9
	v_pk_mov_b32 v[20:21], v[14:15], v[14:15] op_sel:[0,1]
	v_pk_mov_b32 v[0:1], v[2:3], v[2:3] op_sel:[0,1]
.LBB46_26:                              ; =>This Inner Loop Header: Depth=1
	global_load_dwordx4 v[26:29], v[18:19], off offset:-8
	global_load_dwordx4 v[30:33], v[16:17], off offset:-8
	v_add_co_u32_e32 v20, vcc, 8, v20
	v_addc_co_u32_e32 v21, vcc, 0, v21, vcc
	v_add_co_u32_e32 v16, vcc, s4, v16
	v_addc_co_u32_e32 v17, vcc, v17, v23, vcc
	;; [unrolled: 2-line block ×3, first 2 shown]
	v_cmp_le_i64_e32 vcc, s[12:13], v[20:21]
	s_or_b64 s[6:7], vcc, s[6:7]
	s_waitcnt vmcnt(0)
	v_mul_f64 v[34:35], v[28:29], -v[32:33]
	v_mul_f64 v[28:29], v[28:29], v[30:31]
	v_fmac_f64_e32 v[34:35], v[30:31], v[26:27]
	v_fmac_f64_e32 v[28:29], v[32:33], v[26:27]
	v_add_f64 v[0:1], v[0:1], v[34:35]
	v_add_f64 v[2:3], v[2:3], v[28:29]
	s_andn2_b64 exec, exec, s[6:7]
	s_cbranch_execnz .LBB46_26
; %bb.27:
	s_or_b64 exec, exec, s[6:7]
.LBB46_28:
	s_or_b64 exec, exec, s[2:3]
	v_lshlrev_b32_e32 v15, 4, v14
	v_lshl_or_b32 v15, v22, 7, v15
	v_cmp_gt_u32_e32 vcc, 4, v14
	ds_write_b128 v15, v[0:3]
	s_waitcnt lgkmcnt(0)
	s_barrier
	s_and_saveexec_b64 s[2:3], vcc
	s_cbranch_execz .LBB46_30
; %bb.29:
	ds_read_b128 v[0:3], v15 offset:64
	ds_read_b128 v[16:19], v15
	s_waitcnt lgkmcnt(0)
	v_add_f64 v[0:1], v[0:1], v[16:17]
	v_add_f64 v[2:3], v[2:3], v[18:19]
	ds_write_b128 v15, v[0:3]
.LBB46_30:
	s_or_b64 exec, exec, s[2:3]
	v_cmp_gt_u32_e32 vcc, 2, v14
	s_waitcnt lgkmcnt(0)
	s_barrier
	s_and_saveexec_b64 s[2:3], vcc
	s_cbranch_execz .LBB46_32
; %bb.31:
	ds_read_b128 v[0:3], v15
	ds_read_b128 v[16:19], v15 offset:32
	s_waitcnt lgkmcnt(0)
	v_add_f64 v[0:1], v[16:17], v[0:1]
	v_add_f64 v[2:3], v[18:19], v[2:3]
	ds_write_b128 v15, v[0:3]
.LBB46_32:
	s_or_b64 exec, exec, s[2:3]
	v_cmp_eq_u32_e32 vcc, 0, v14
	v_lshlrev_b32_e32 v0, 7, v22
	s_waitcnt lgkmcnt(0)
	s_barrier
	s_and_saveexec_b64 s[2:3], vcc
	s_cbranch_execz .LBB46_34
; %bb.33:
	ds_read_b128 v[16:19], v0 offset:16
	ds_read_b128 v[20:23], v15
	s_waitcnt lgkmcnt(0)
	v_add_f64 v[16:17], v[16:17], v[20:21]
	v_add_f64 v[18:19], v[18:19], v[22:23]
	ds_write_b128 v15, v[16:19]
.LBB46_34:
	s_or_b64 exec, exec, s[2:3]
	s_waitcnt lgkmcnt(0)
	s_barrier
	s_and_b64 exec, exec, vcc
	s_cbranch_execz .LBB46_36
; %bb.35:
	v_lshlrev_b64 v[2:3], 4, v[12:13]
	v_mov_b32_e32 v1, s1
	v_add_co_u32_e32 v16, vcc, s0, v2
	v_addc_co_u32_e32 v17, vcc, v1, v3, vcc
	global_load_dwordx4 v[12:15], v[16:17], off
	ds_read_b128 v[0:3], v0
	s_waitcnt lgkmcnt(0)
	v_mul_f64 v[18:19], v[2:3], -v[6:7]
	v_mul_f64 v[2:3], v[4:5], v[2:3]
	v_fmac_f64_e32 v[18:19], v[4:5], v[0:1]
	v_fmac_f64_e32 v[2:3], v[6:7], v[0:1]
	s_waitcnt vmcnt(0)
	v_mul_f64 v[0:1], v[10:11], -v[14:15]
	v_mul_f64 v[4:5], v[10:11], v[12:13]
	v_fmac_f64_e32 v[0:1], v[12:13], v[8:9]
	v_fmac_f64_e32 v[4:5], v[14:15], v[8:9]
	v_add_f64 v[0:1], v[0:1], v[18:19]
	v_add_f64 v[2:3], v[4:5], v[2:3]
	global_store_dwordx4 v[16:17], v[0:3], off
.LBB46_36:
	s_endpgm
	.section	.rodata,"a",@progbits
	.p2align	6, 0x0
	.amdhsa_kernel _ZN9rocsparseL17sddmm_coox_kernelILi512ELi8ELb0E21rocsparse_complex_numIdEllS2_S2_S2_EEv20rocsparse_operation_S3_16rocsparse_order_S4_T4_S5_S5_T3_NS_24const_host_device_scalarIT2_EEPKT5_lPKT6_lS9_PT7_PKS6_SJ_21rocsparse_index_base_b
		.amdhsa_group_segment_fixed_size 16384
		.amdhsa_private_segment_fixed_size 0
		.amdhsa_kernarg_size 144
		.amdhsa_user_sgpr_count 8
		.amdhsa_user_sgpr_private_segment_buffer 1
		.amdhsa_user_sgpr_dispatch_ptr 1
		.amdhsa_user_sgpr_queue_ptr 0
		.amdhsa_user_sgpr_kernarg_segment_ptr 1
		.amdhsa_user_sgpr_dispatch_id 0
		.amdhsa_user_sgpr_flat_scratch_init 0
		.amdhsa_user_sgpr_kernarg_preload_length 0
		.amdhsa_user_sgpr_kernarg_preload_offset 0
		.amdhsa_user_sgpr_private_segment_size 0
		.amdhsa_uses_dynamic_stack 0
		.amdhsa_system_sgpr_private_segment_wavefront_offset 0
		.amdhsa_system_sgpr_workgroup_id_x 1
		.amdhsa_system_sgpr_workgroup_id_y 0
		.amdhsa_system_sgpr_workgroup_id_z 0
		.amdhsa_system_sgpr_workgroup_info 0
		.amdhsa_system_vgpr_workitem_id 2
		.amdhsa_next_free_vgpr 36
		.amdhsa_next_free_sgpr 26
		.amdhsa_accum_offset 36
		.amdhsa_reserve_vcc 1
		.amdhsa_reserve_flat_scratch 0
		.amdhsa_float_round_mode_32 0
		.amdhsa_float_round_mode_16_64 0
		.amdhsa_float_denorm_mode_32 3
		.amdhsa_float_denorm_mode_16_64 3
		.amdhsa_dx10_clamp 1
		.amdhsa_ieee_mode 1
		.amdhsa_fp16_overflow 0
		.amdhsa_tg_split 0
		.amdhsa_exception_fp_ieee_invalid_op 0
		.amdhsa_exception_fp_denorm_src 0
		.amdhsa_exception_fp_ieee_div_zero 0
		.amdhsa_exception_fp_ieee_overflow 0
		.amdhsa_exception_fp_ieee_underflow 0
		.amdhsa_exception_fp_ieee_inexact 0
		.amdhsa_exception_int_div_zero 0
	.end_amdhsa_kernel
	.section	.text._ZN9rocsparseL17sddmm_coox_kernelILi512ELi8ELb0E21rocsparse_complex_numIdEllS2_S2_S2_EEv20rocsparse_operation_S3_16rocsparse_order_S4_T4_S5_S5_T3_NS_24const_host_device_scalarIT2_EEPKT5_lPKT6_lS9_PT7_PKS6_SJ_21rocsparse_index_base_b,"axG",@progbits,_ZN9rocsparseL17sddmm_coox_kernelILi512ELi8ELb0E21rocsparse_complex_numIdEllS2_S2_S2_EEv20rocsparse_operation_S3_16rocsparse_order_S4_T4_S5_S5_T3_NS_24const_host_device_scalarIT2_EEPKT5_lPKT6_lS9_PT7_PKS6_SJ_21rocsparse_index_base_b,comdat
.Lfunc_end46:
	.size	_ZN9rocsparseL17sddmm_coox_kernelILi512ELi8ELb0E21rocsparse_complex_numIdEllS2_S2_S2_EEv20rocsparse_operation_S3_16rocsparse_order_S4_T4_S5_S5_T3_NS_24const_host_device_scalarIT2_EEPKT5_lPKT6_lS9_PT7_PKS6_SJ_21rocsparse_index_base_b, .Lfunc_end46-_ZN9rocsparseL17sddmm_coox_kernelILi512ELi8ELb0E21rocsparse_complex_numIdEllS2_S2_S2_EEv20rocsparse_operation_S3_16rocsparse_order_S4_T4_S5_S5_T3_NS_24const_host_device_scalarIT2_EEPKT5_lPKT6_lS9_PT7_PKS6_SJ_21rocsparse_index_base_b
                                        ; -- End function
	.section	.AMDGPU.csdata,"",@progbits
; Kernel info:
; codeLenInByte = 1500
; NumSgprs: 30
; NumVgprs: 36
; NumAgprs: 0
; TotalNumVgprs: 36
; ScratchSize: 0
; MemoryBound: 0
; FloatMode: 240
; IeeeMode: 1
; LDSByteSize: 16384 bytes/workgroup (compile time only)
; SGPRBlocks: 3
; VGPRBlocks: 4
; NumSGPRsForWavesPerEU: 30
; NumVGPRsForWavesPerEU: 36
; AccumOffset: 36
; Occupancy: 8
; WaveLimiterHint : 1
; COMPUTE_PGM_RSRC2:SCRATCH_EN: 0
; COMPUTE_PGM_RSRC2:USER_SGPR: 8
; COMPUTE_PGM_RSRC2:TRAP_HANDLER: 0
; COMPUTE_PGM_RSRC2:TGID_X_EN: 1
; COMPUTE_PGM_RSRC2:TGID_Y_EN: 0
; COMPUTE_PGM_RSRC2:TGID_Z_EN: 0
; COMPUTE_PGM_RSRC2:TIDIG_COMP_CNT: 2
; COMPUTE_PGM_RSRC3_GFX90A:ACCUM_OFFSET: 8
; COMPUTE_PGM_RSRC3_GFX90A:TG_SPLIT: 0
	.section	.text._ZN9rocsparseL17sddmm_coox_kernelILi512ELi4ELb0E21rocsparse_complex_numIdEllS2_S2_S2_EEv20rocsparse_operation_S3_16rocsparse_order_S4_T4_S5_S5_T3_NS_24const_host_device_scalarIT2_EEPKT5_lPKT6_lS9_PT7_PKS6_SJ_21rocsparse_index_base_b,"axG",@progbits,_ZN9rocsparseL17sddmm_coox_kernelILi512ELi4ELb0E21rocsparse_complex_numIdEllS2_S2_S2_EEv20rocsparse_operation_S3_16rocsparse_order_S4_T4_S5_S5_T3_NS_24const_host_device_scalarIT2_EEPKT5_lPKT6_lS9_PT7_PKS6_SJ_21rocsparse_index_base_b,comdat
	.globl	_ZN9rocsparseL17sddmm_coox_kernelILi512ELi4ELb0E21rocsparse_complex_numIdEllS2_S2_S2_EEv20rocsparse_operation_S3_16rocsparse_order_S4_T4_S5_S5_T3_NS_24const_host_device_scalarIT2_EEPKT5_lPKT6_lS9_PT7_PKS6_SJ_21rocsparse_index_base_b ; -- Begin function _ZN9rocsparseL17sddmm_coox_kernelILi512ELi4ELb0E21rocsparse_complex_numIdEllS2_S2_S2_EEv20rocsparse_operation_S3_16rocsparse_order_S4_T4_S5_S5_T3_NS_24const_host_device_scalarIT2_EEPKT5_lPKT6_lS9_PT7_PKS6_SJ_21rocsparse_index_base_b
	.p2align	8
	.type	_ZN9rocsparseL17sddmm_coox_kernelILi512ELi4ELb0E21rocsparse_complex_numIdEllS2_S2_S2_EEv20rocsparse_operation_S3_16rocsparse_order_S4_T4_S5_S5_T3_NS_24const_host_device_scalarIT2_EEPKT5_lPKT6_lS9_PT7_PKS6_SJ_21rocsparse_index_base_b,@function
_ZN9rocsparseL17sddmm_coox_kernelILi512ELi4ELb0E21rocsparse_complex_numIdEllS2_S2_S2_EEv20rocsparse_operation_S3_16rocsparse_order_S4_T4_S5_S5_T3_NS_24const_host_device_scalarIT2_EEPKT5_lPKT6_lS9_PT7_PKS6_SJ_21rocsparse_index_base_b: ; @_ZN9rocsparseL17sddmm_coox_kernelILi512ELi4ELb0E21rocsparse_complex_numIdEllS2_S2_S2_EEv20rocsparse_operation_S3_16rocsparse_order_S4_T4_S5_S5_T3_NS_24const_host_device_scalarIT2_EEPKT5_lPKT6_lS9_PT7_PKS6_SJ_21rocsparse_index_base_b
; %bb.0:
	s_load_dwordx2 s[10:11], s[6:7], 0x88
	s_load_dwordx8 s[12:19], s[6:7], 0x20
	s_load_dwordx4 s[20:23], s[6:7], 0x58
	s_load_dwordx2 s[2:3], s[6:7], 0x68
	s_mov_b64 s[24:25], src_shared_base
	s_load_dwordx2 s[4:5], s[4:5], 0x4
	s_waitcnt lgkmcnt(0)
	s_bitcmp1_b32 s11, 0
	s_cselect_b64 s[0:1], -1, 0
	s_and_b64 vcc, s[0:1], exec
	s_cselect_b32 s9, s25, s17
	s_lshr_b32 s4, s4, 16
	v_and_b32_e32 v14, 0x3ff, v0
	s_mul_i32 s4, s4, s5
	v_mul_lo_u32 v1, s4, v14
	v_bfe_u32 v2, v0, 10, 10
	v_mad_u32_u24 v1, v2, s5, v1
	v_bfe_u32 v0, v0, 20, 10
	v_add_lshl_u32 v6, v1, v0, 3
	v_mov_b32_e32 v4, s16
	v_add_u32_e32 v5, 0x3000, v6
	v_pk_mov_b32 v[0:1], s[16:17], s[16:17] op_sel:[0,1]
	v_pk_mov_b32 v[2:3], s[22:23], s[22:23] op_sel:[0,1]
	ds_write2st64_b64 v6, v[2:3], v[0:1] offset0:16 offset1:24
	v_cndmask_b32_e64 v0, v4, v5, s[0:1]
	v_mov_b32_e32 v1, s9
	flat_load_dwordx2 v[4:5], v[0:1]
	s_xor_b64 s[4:5], s[0:1], -1
	v_add_u32_e32 v0, 0x2000, v6
	v_pk_mov_b32 v[6:7], s[18:19], s[18:19] op_sel:[0,1]
	s_cbranch_vccnz .LBB47_2
; %bb.1:
	v_pk_mov_b32 v[2:3], s[16:17], s[16:17] op_sel:[0,1]
	flat_load_dwordx2 v[6:7], v[2:3] offset:8
.LBB47_2:
	s_and_b64 s[16:17], s[0:1], exec
	s_cselect_b32 s9, s25, s23
	v_mov_b32_e32 v1, s22
	v_cndmask_b32_e64 v0, v1, v0, s[0:1]
	v_mov_b32_e32 v1, s9
	flat_load_dwordx2 v[8:9], v[0:1]
	s_andn2_b64 vcc, exec, s[4:5]
	v_pk_mov_b32 v[10:11], s[2:3], s[2:3] op_sel:[0,1]
	s_cbranch_vccnz .LBB47_4
; %bb.3:
	v_pk_mov_b32 v[0:1], s[22:23], s[22:23] op_sel:[0,1]
	flat_load_dwordx2 v[10:11], v[0:1] offset:8
.LBB47_4:
	s_waitcnt vmcnt(0) lgkmcnt(0)
	v_cmp_eq_f64_e32 vcc, 0, v[4:5]
	v_cmp_eq_f64_e64 s[0:1], 0, v[6:7]
	s_and_b64 s[4:5], vcc, s[0:1]
	s_mov_b64 s[0:1], -1
	s_and_saveexec_b64 s[2:3], s[4:5]
; %bb.5:
	v_cmp_neq_f64_e32 vcc, 1.0, v[8:9]
	v_cmp_neq_f64_e64 s[0:1], 0, v[10:11]
	s_or_b64 s[0:1], vcc, s[0:1]
	s_orn2_b64 s[0:1], s[0:1], exec
; %bb.6:
	s_or_b64 exec, exec, s[2:3]
	s_and_saveexec_b64 s[2:3], s[0:1]
	s_cbranch_execz .LBB47_34
; %bb.7:
	v_lshrrev_b32_e32 v22, 2, v14
	v_lshl_or_b32 v12, s8, 7, v22
	v_mov_b32_e32 v13, 0
	v_cmp_gt_i64_e32 vcc, s[14:15], v[12:13]
	s_and_b64 exec, exec, vcc
	s_cbranch_execz .LBB47_34
; %bb.8:
	s_load_dwordx4 s[0:3], s[6:7], 0x78
	v_lshlrev_b64 v[0:1], 3, v[12:13]
	s_mov_b32 s11, 0
	s_waitcnt lgkmcnt(0)
	v_mov_b32_e32 v3, s1
	v_add_co_u32_e32 v2, vcc, s0, v0
	v_addc_co_u32_e32 v3, vcc, v3, v1, vcc
	global_load_dwordx2 v[2:3], v[2:3], off
	v_mov_b32_e32 v15, s3
	v_add_co_u32_e32 v0, vcc, s2, v0
	v_addc_co_u32_e32 v1, vcc, v15, v1, vcc
	global_load_dwordx2 v[0:1], v[0:1], off
	s_load_dwordx4 s[0:3], s[6:7], 0x0
	s_load_dwordx2 s[4:5], s[6:7], 0x48
	s_waitcnt lgkmcnt(0)
	s_cmp_eq_u32 s2, 1
	s_cselect_b64 s[8:9], -1, 0
	s_cmpk_eq_i32 s0, 0x6f
	s_cselect_b64 s[14:15], -1, 0
	s_cmpk_lg_i32 s0, 0x6f
	s_cselect_b64 s[16:17], -1, 0
	s_cmp_lg_u32 s2, 1
	s_waitcnt vmcnt(1)
	v_subrev_co_u32_e32 v2, vcc, s10, v2
	v_subbrev_co_u32_e32 v3, vcc, 0, v3, vcc
	s_cbranch_scc0 .LBB47_12
; %bb.9:
	s_andn2_b64 vcc, exec, s[14:15]
	v_pk_mov_b32 v[16:17], v[2:3], v[2:3] op_sel:[0,1]
	s_cbranch_vccnz .LBB47_11
; %bb.10:
	v_mul_lo_u32 v15, v3, s4
	v_mul_lo_u32 v18, v2, s5
	v_mad_u64_u32 v[16:17], s[18:19], v2, s4, 0
	v_add3_u32 v17, v17, v18, v15
.LBB47_11:
	s_cbranch_execz .LBB47_13
	s_branch .LBB47_16
.LBB47_12:
                                        ; implicit-def: $vgpr16_vgpr17
.LBB47_13:
	s_andn2_b64 vcc, exec, s[16:17]
	s_cbranch_vccnz .LBB47_15
; %bb.14:
	v_mul_lo_u32 v15, v3, s4
	v_mul_lo_u32 v16, v2, s5
	v_mad_u64_u32 v[2:3], s[16:17], v2, s4, 0
	v_add3_u32 v3, v3, v16, v15
.LBB47_15:
	v_pk_mov_b32 v[16:17], v[2:3], v[2:3] op_sel:[0,1]
.LBB47_16:
	s_cmp_eq_u32 s3, 1
	s_cselect_b64 s[16:17], -1, 0
	s_cmpk_eq_i32 s1, 0x6f
	v_mov_b32_e32 v2, s11
	s_cselect_b64 s[18:19], -1, 0
	s_cmpk_lg_i32 s1, 0x6f
	s_waitcnt vmcnt(0)
	v_subrev_co_u32_e32 v0, vcc, s10, v0
	s_cselect_b64 s[0:1], -1, 0
	s_cmp_lg_u32 s3, 1
	v_subb_co_u32_e32 v1, vcc, v1, v2, vcc
	s_cbranch_scc0 .LBB47_20
; %bb.17:
	s_andn2_b64 vcc, exec, s[0:1]
	v_pk_mov_b32 v[18:19], v[0:1], v[0:1] op_sel:[0,1]
	s_cbranch_vccnz .LBB47_19
; %bb.18:
	v_mul_lo_u32 v2, v1, s20
	v_mul_lo_u32 v3, v0, s21
	v_mad_u64_u32 v[18:19], s[0:1], v0, s20, 0
	v_add3_u32 v19, v19, v3, v2
.LBB47_19:
	s_cbranch_execz .LBB47_21
	s_branch .LBB47_24
.LBB47_20:
                                        ; implicit-def: $vgpr18_vgpr19
.LBB47_21:
	s_andn2_b64 vcc, exec, s[18:19]
	s_cbranch_vccnz .LBB47_23
; %bb.22:
	v_mul_lo_u32 v2, v1, s20
	v_mul_lo_u32 v3, v0, s21
	v_mad_u64_u32 v[0:1], s[0:1], v0, s20, 0
	v_add3_u32 v1, v1, v3, v2
.LBB47_23:
	v_pk_mov_b32 v[18:19], v[0:1], v[0:1] op_sel:[0,1]
.LBB47_24:
	s_load_dwordx2 s[0:1], s[6:7], 0x70
	v_and_b32_e32 v14, 3, v14
	v_mov_b32_e32 v15, 0
	v_pk_mov_b32 v[2:3], 0, 0
	v_cmp_gt_i64_e32 vcc, s[12:13], v[14:15]
	v_pk_mov_b32 v[0:1], v[2:3], v[2:3] op_sel:[0,1]
	s_and_saveexec_b64 s[2:3], vcc
	s_cbranch_execz .LBB47_28
; %bb.25:
	s_load_dwordx2 s[10:11], s[6:7], 0x40
	s_load_dwordx2 s[22:23], s[6:7], 0x50
	s_xor_b64 s[6:7], s[14:15], s[8:9]
	s_and_b64 s[6:7], s[6:7], exec
	s_cselect_b32 s4, 1, s4
	v_mad_u64_u32 v[0:1], s[8:9], s4, v14, 0
	s_cselect_b32 s5, 0, s5
	v_mov_b32_e32 v2, v1
	v_mad_u64_u32 v[2:3], s[8:9], s5, v14, v[2:3]
	v_mov_b32_e32 v1, v2
	v_lshlrev_b64 v[0:1], 4, v[0:1]
	v_lshlrev_b64 v[2:3], 4, v[16:17]
	v_add_co_u32_e32 v0, vcc, v0, v2
	v_addc_co_u32_e32 v1, vcc, v1, v3, vcc
	s_xor_b64 s[6:7], s[18:19], s[16:17]
	s_waitcnt lgkmcnt(0)
	v_mov_b32_e32 v2, s11
	v_add_co_u32_e32 v0, vcc, s10, v0
	s_and_b64 s[6:7], s[6:7], exec
	v_addc_co_u32_e32 v1, vcc, v1, v2, vcc
	s_cselect_b32 s6, s20, 1
	v_add_co_u32_e32 v16, vcc, 8, v0
	v_addc_co_u32_e32 v17, vcc, 0, v1, vcc
	v_mad_u64_u32 v[0:1], s[8:9], s6, v14, 0
	s_cselect_b32 s7, s21, 0
	v_mov_b32_e32 v2, v1
	v_mad_u64_u32 v[2:3], s[8:9], s7, v14, v[2:3]
	v_mov_b32_e32 v1, v2
	v_lshlrev_b64 v[0:1], 4, v[0:1]
	v_lshlrev_b64 v[2:3], 4, v[18:19]
	v_add_co_u32_e32 v0, vcc, v0, v2
	v_addc_co_u32_e32 v1, vcc, v1, v3, vcc
	v_mov_b32_e32 v2, s23
	v_add_co_u32_e32 v0, vcc, s22, v0
	v_addc_co_u32_e32 v1, vcc, v1, v2, vcc
	s_lshl_b64 s[4:5], s[4:5], 6
	v_add_co_u32_e32 v18, vcc, 8, v0
	s_lshl_b64 s[8:9], s[6:7], 6
	v_pk_mov_b32 v[2:3], 0, 0
	v_addc_co_u32_e32 v19, vcc, 0, v1, vcc
	s_mov_b64 s[6:7], 0
	v_mov_b32_e32 v23, s5
	v_mov_b32_e32 v24, s9
	v_pk_mov_b32 v[20:21], v[14:15], v[14:15] op_sel:[0,1]
	v_pk_mov_b32 v[0:1], v[2:3], v[2:3] op_sel:[0,1]
.LBB47_26:                              ; =>This Inner Loop Header: Depth=1
	global_load_dwordx4 v[26:29], v[18:19], off offset:-8
	global_load_dwordx4 v[30:33], v[16:17], off offset:-8
	v_add_co_u32_e32 v20, vcc, 4, v20
	v_addc_co_u32_e32 v21, vcc, 0, v21, vcc
	v_add_co_u32_e32 v16, vcc, s4, v16
	v_addc_co_u32_e32 v17, vcc, v17, v23, vcc
	v_add_co_u32_e32 v18, vcc, s8, v18
	v_addc_co_u32_e32 v19, vcc, v19, v24, vcc
	v_cmp_le_i64_e32 vcc, s[12:13], v[20:21]
	s_or_b64 s[6:7], vcc, s[6:7]
	s_waitcnt vmcnt(0)
	v_mul_f64 v[34:35], v[28:29], -v[32:33]
	v_mul_f64 v[28:29], v[28:29], v[30:31]
	v_fmac_f64_e32 v[34:35], v[30:31], v[26:27]
	v_fmac_f64_e32 v[28:29], v[32:33], v[26:27]
	v_add_f64 v[0:1], v[0:1], v[34:35]
	v_add_f64 v[2:3], v[2:3], v[28:29]
	s_andn2_b64 exec, exec, s[6:7]
	s_cbranch_execnz .LBB47_26
; %bb.27:
	s_or_b64 exec, exec, s[6:7]
.LBB47_28:
	s_or_b64 exec, exec, s[2:3]
	v_lshlrev_b32_e32 v15, 4, v14
	v_lshl_or_b32 v15, v22, 6, v15
	v_cmp_gt_u32_e32 vcc, 2, v14
	ds_write_b128 v15, v[0:3]
	s_waitcnt lgkmcnt(0)
	s_barrier
	s_and_saveexec_b64 s[2:3], vcc
	s_cbranch_execz .LBB47_30
; %bb.29:
	ds_read_b128 v[0:3], v15
	ds_read_b128 v[16:19], v15 offset:32
	s_waitcnt lgkmcnt(0)
	v_add_f64 v[0:1], v[16:17], v[0:1]
	v_add_f64 v[2:3], v[18:19], v[2:3]
	ds_write_b128 v15, v[0:3]
.LBB47_30:
	s_or_b64 exec, exec, s[2:3]
	v_cmp_eq_u32_e32 vcc, 0, v14
	v_lshlrev_b32_e32 v0, 6, v22
	s_waitcnt lgkmcnt(0)
	s_barrier
	s_and_saveexec_b64 s[2:3], vcc
	s_cbranch_execz .LBB47_32
; %bb.31:
	ds_read_b128 v[16:19], v0 offset:16
	ds_read_b128 v[20:23], v15
	s_waitcnt lgkmcnt(0)
	v_add_f64 v[16:17], v[16:17], v[20:21]
	v_add_f64 v[18:19], v[18:19], v[22:23]
	ds_write_b128 v15, v[16:19]
.LBB47_32:
	s_or_b64 exec, exec, s[2:3]
	s_waitcnt lgkmcnt(0)
	s_barrier
	s_and_b64 exec, exec, vcc
	s_cbranch_execz .LBB47_34
; %bb.33:
	v_lshlrev_b64 v[2:3], 4, v[12:13]
	v_mov_b32_e32 v1, s1
	v_add_co_u32_e32 v16, vcc, s0, v2
	v_addc_co_u32_e32 v17, vcc, v1, v3, vcc
	global_load_dwordx4 v[12:15], v[16:17], off
	ds_read_b128 v[0:3], v0
	s_waitcnt lgkmcnt(0)
	v_mul_f64 v[18:19], v[2:3], -v[6:7]
	v_mul_f64 v[2:3], v[4:5], v[2:3]
	v_fmac_f64_e32 v[18:19], v[4:5], v[0:1]
	v_fmac_f64_e32 v[2:3], v[6:7], v[0:1]
	s_waitcnt vmcnt(0)
	v_mul_f64 v[0:1], v[10:11], -v[14:15]
	v_mul_f64 v[4:5], v[10:11], v[12:13]
	v_fmac_f64_e32 v[0:1], v[12:13], v[8:9]
	v_fmac_f64_e32 v[4:5], v[14:15], v[8:9]
	v_add_f64 v[0:1], v[0:1], v[18:19]
	v_add_f64 v[2:3], v[4:5], v[2:3]
	global_store_dwordx4 v[16:17], v[0:3], off
.LBB47_34:
	s_endpgm
	.section	.rodata,"a",@progbits
	.p2align	6, 0x0
	.amdhsa_kernel _ZN9rocsparseL17sddmm_coox_kernelILi512ELi4ELb0E21rocsparse_complex_numIdEllS2_S2_S2_EEv20rocsparse_operation_S3_16rocsparse_order_S4_T4_S5_S5_T3_NS_24const_host_device_scalarIT2_EEPKT5_lPKT6_lS9_PT7_PKS6_SJ_21rocsparse_index_base_b
		.amdhsa_group_segment_fixed_size 16384
		.amdhsa_private_segment_fixed_size 0
		.amdhsa_kernarg_size 144
		.amdhsa_user_sgpr_count 8
		.amdhsa_user_sgpr_private_segment_buffer 1
		.amdhsa_user_sgpr_dispatch_ptr 1
		.amdhsa_user_sgpr_queue_ptr 0
		.amdhsa_user_sgpr_kernarg_segment_ptr 1
		.amdhsa_user_sgpr_dispatch_id 0
		.amdhsa_user_sgpr_flat_scratch_init 0
		.amdhsa_user_sgpr_kernarg_preload_length 0
		.amdhsa_user_sgpr_kernarg_preload_offset 0
		.amdhsa_user_sgpr_private_segment_size 0
		.amdhsa_uses_dynamic_stack 0
		.amdhsa_system_sgpr_private_segment_wavefront_offset 0
		.amdhsa_system_sgpr_workgroup_id_x 1
		.amdhsa_system_sgpr_workgroup_id_y 0
		.amdhsa_system_sgpr_workgroup_id_z 0
		.amdhsa_system_sgpr_workgroup_info 0
		.amdhsa_system_vgpr_workitem_id 2
		.amdhsa_next_free_vgpr 36
		.amdhsa_next_free_sgpr 26
		.amdhsa_accum_offset 36
		.amdhsa_reserve_vcc 1
		.amdhsa_reserve_flat_scratch 0
		.amdhsa_float_round_mode_32 0
		.amdhsa_float_round_mode_16_64 0
		.amdhsa_float_denorm_mode_32 3
		.amdhsa_float_denorm_mode_16_64 3
		.amdhsa_dx10_clamp 1
		.amdhsa_ieee_mode 1
		.amdhsa_fp16_overflow 0
		.amdhsa_tg_split 0
		.amdhsa_exception_fp_ieee_invalid_op 0
		.amdhsa_exception_fp_denorm_src 0
		.amdhsa_exception_fp_ieee_div_zero 0
		.amdhsa_exception_fp_ieee_overflow 0
		.amdhsa_exception_fp_ieee_underflow 0
		.amdhsa_exception_fp_ieee_inexact 0
		.amdhsa_exception_int_div_zero 0
	.end_amdhsa_kernel
	.section	.text._ZN9rocsparseL17sddmm_coox_kernelILi512ELi4ELb0E21rocsparse_complex_numIdEllS2_S2_S2_EEv20rocsparse_operation_S3_16rocsparse_order_S4_T4_S5_S5_T3_NS_24const_host_device_scalarIT2_EEPKT5_lPKT6_lS9_PT7_PKS6_SJ_21rocsparse_index_base_b,"axG",@progbits,_ZN9rocsparseL17sddmm_coox_kernelILi512ELi4ELb0E21rocsparse_complex_numIdEllS2_S2_S2_EEv20rocsparse_operation_S3_16rocsparse_order_S4_T4_S5_S5_T3_NS_24const_host_device_scalarIT2_EEPKT5_lPKT6_lS9_PT7_PKS6_SJ_21rocsparse_index_base_b,comdat
.Lfunc_end47:
	.size	_ZN9rocsparseL17sddmm_coox_kernelILi512ELi4ELb0E21rocsparse_complex_numIdEllS2_S2_S2_EEv20rocsparse_operation_S3_16rocsparse_order_S4_T4_S5_S5_T3_NS_24const_host_device_scalarIT2_EEPKT5_lPKT6_lS9_PT7_PKS6_SJ_21rocsparse_index_base_b, .Lfunc_end47-_ZN9rocsparseL17sddmm_coox_kernelILi512ELi4ELb0E21rocsparse_complex_numIdEllS2_S2_S2_EEv20rocsparse_operation_S3_16rocsparse_order_S4_T4_S5_S5_T3_NS_24const_host_device_scalarIT2_EEPKT5_lPKT6_lS9_PT7_PKS6_SJ_21rocsparse_index_base_b
                                        ; -- End function
	.section	.AMDGPU.csdata,"",@progbits
; Kernel info:
; codeLenInByte = 1432
; NumSgprs: 30
; NumVgprs: 36
; NumAgprs: 0
; TotalNumVgprs: 36
; ScratchSize: 0
; MemoryBound: 0
; FloatMode: 240
; IeeeMode: 1
; LDSByteSize: 16384 bytes/workgroup (compile time only)
; SGPRBlocks: 3
; VGPRBlocks: 4
; NumSGPRsForWavesPerEU: 30
; NumVGPRsForWavesPerEU: 36
; AccumOffset: 36
; Occupancy: 8
; WaveLimiterHint : 1
; COMPUTE_PGM_RSRC2:SCRATCH_EN: 0
; COMPUTE_PGM_RSRC2:USER_SGPR: 8
; COMPUTE_PGM_RSRC2:TRAP_HANDLER: 0
; COMPUTE_PGM_RSRC2:TGID_X_EN: 1
; COMPUTE_PGM_RSRC2:TGID_Y_EN: 0
; COMPUTE_PGM_RSRC2:TGID_Z_EN: 0
; COMPUTE_PGM_RSRC2:TIDIG_COMP_CNT: 2
; COMPUTE_PGM_RSRC3_GFX90A:ACCUM_OFFSET: 8
; COMPUTE_PGM_RSRC3_GFX90A:TG_SPLIT: 0
	.section	.text._ZN9rocsparseL17sddmm_coox_kernelILi512ELi2ELb0E21rocsparse_complex_numIdEllS2_S2_S2_EEv20rocsparse_operation_S3_16rocsparse_order_S4_T4_S5_S5_T3_NS_24const_host_device_scalarIT2_EEPKT5_lPKT6_lS9_PT7_PKS6_SJ_21rocsparse_index_base_b,"axG",@progbits,_ZN9rocsparseL17sddmm_coox_kernelILi512ELi2ELb0E21rocsparse_complex_numIdEllS2_S2_S2_EEv20rocsparse_operation_S3_16rocsparse_order_S4_T4_S5_S5_T3_NS_24const_host_device_scalarIT2_EEPKT5_lPKT6_lS9_PT7_PKS6_SJ_21rocsparse_index_base_b,comdat
	.globl	_ZN9rocsparseL17sddmm_coox_kernelILi512ELi2ELb0E21rocsparse_complex_numIdEllS2_S2_S2_EEv20rocsparse_operation_S3_16rocsparse_order_S4_T4_S5_S5_T3_NS_24const_host_device_scalarIT2_EEPKT5_lPKT6_lS9_PT7_PKS6_SJ_21rocsparse_index_base_b ; -- Begin function _ZN9rocsparseL17sddmm_coox_kernelILi512ELi2ELb0E21rocsparse_complex_numIdEllS2_S2_S2_EEv20rocsparse_operation_S3_16rocsparse_order_S4_T4_S5_S5_T3_NS_24const_host_device_scalarIT2_EEPKT5_lPKT6_lS9_PT7_PKS6_SJ_21rocsparse_index_base_b
	.p2align	8
	.type	_ZN9rocsparseL17sddmm_coox_kernelILi512ELi2ELb0E21rocsparse_complex_numIdEllS2_S2_S2_EEv20rocsparse_operation_S3_16rocsparse_order_S4_T4_S5_S5_T3_NS_24const_host_device_scalarIT2_EEPKT5_lPKT6_lS9_PT7_PKS6_SJ_21rocsparse_index_base_b,@function
_ZN9rocsparseL17sddmm_coox_kernelILi512ELi2ELb0E21rocsparse_complex_numIdEllS2_S2_S2_EEv20rocsparse_operation_S3_16rocsparse_order_S4_T4_S5_S5_T3_NS_24const_host_device_scalarIT2_EEPKT5_lPKT6_lS9_PT7_PKS6_SJ_21rocsparse_index_base_b: ; @_ZN9rocsparseL17sddmm_coox_kernelILi512ELi2ELb0E21rocsparse_complex_numIdEllS2_S2_S2_EEv20rocsparse_operation_S3_16rocsparse_order_S4_T4_S5_S5_T3_NS_24const_host_device_scalarIT2_EEPKT5_lPKT6_lS9_PT7_PKS6_SJ_21rocsparse_index_base_b
; %bb.0:
	s_load_dwordx2 s[10:11], s[6:7], 0x88
	s_load_dwordx8 s[12:19], s[6:7], 0x20
	s_load_dwordx4 s[20:23], s[6:7], 0x58
	s_load_dwordx2 s[2:3], s[6:7], 0x68
	s_mov_b64 s[24:25], src_shared_base
	s_load_dwordx2 s[4:5], s[4:5], 0x4
	s_waitcnt lgkmcnt(0)
	s_bitcmp1_b32 s11, 0
	s_cselect_b64 s[0:1], -1, 0
	s_and_b64 vcc, s[0:1], exec
	s_cselect_b32 s9, s25, s17
	s_lshr_b32 s4, s4, 16
	v_and_b32_e32 v14, 0x3ff, v0
	s_mul_i32 s4, s4, s5
	v_mul_lo_u32 v1, s4, v14
	v_bfe_u32 v2, v0, 10, 10
	v_mad_u32_u24 v1, v2, s5, v1
	v_bfe_u32 v0, v0, 20, 10
	v_add_lshl_u32 v6, v1, v0, 3
	v_mov_b32_e32 v4, s16
	v_add_u32_e32 v5, 0x3000, v6
	v_pk_mov_b32 v[0:1], s[16:17], s[16:17] op_sel:[0,1]
	v_pk_mov_b32 v[2:3], s[22:23], s[22:23] op_sel:[0,1]
	ds_write2st64_b64 v6, v[2:3], v[0:1] offset0:16 offset1:24
	v_cndmask_b32_e64 v0, v4, v5, s[0:1]
	v_mov_b32_e32 v1, s9
	flat_load_dwordx2 v[4:5], v[0:1]
	s_xor_b64 s[4:5], s[0:1], -1
	v_add_u32_e32 v0, 0x2000, v6
	v_pk_mov_b32 v[6:7], s[18:19], s[18:19] op_sel:[0,1]
	s_cbranch_vccnz .LBB48_2
; %bb.1:
	v_pk_mov_b32 v[2:3], s[16:17], s[16:17] op_sel:[0,1]
	flat_load_dwordx2 v[6:7], v[2:3] offset:8
.LBB48_2:
	s_and_b64 s[16:17], s[0:1], exec
	s_cselect_b32 s9, s25, s23
	v_mov_b32_e32 v1, s22
	v_cndmask_b32_e64 v0, v1, v0, s[0:1]
	v_mov_b32_e32 v1, s9
	flat_load_dwordx2 v[8:9], v[0:1]
	s_andn2_b64 vcc, exec, s[4:5]
	v_pk_mov_b32 v[10:11], s[2:3], s[2:3] op_sel:[0,1]
	s_cbranch_vccnz .LBB48_4
; %bb.3:
	v_pk_mov_b32 v[0:1], s[22:23], s[22:23] op_sel:[0,1]
	flat_load_dwordx2 v[10:11], v[0:1] offset:8
.LBB48_4:
	s_waitcnt vmcnt(0) lgkmcnt(0)
	v_cmp_eq_f64_e32 vcc, 0, v[4:5]
	v_cmp_eq_f64_e64 s[0:1], 0, v[6:7]
	s_and_b64 s[4:5], vcc, s[0:1]
	s_mov_b64 s[0:1], -1
	s_and_saveexec_b64 s[2:3], s[4:5]
; %bb.5:
	v_cmp_neq_f64_e32 vcc, 1.0, v[8:9]
	v_cmp_neq_f64_e64 s[0:1], 0, v[10:11]
	s_or_b64 s[0:1], vcc, s[0:1]
	s_orn2_b64 s[0:1], s[0:1], exec
; %bb.6:
	s_or_b64 exec, exec, s[2:3]
	s_and_saveexec_b64 s[2:3], s[0:1]
	s_cbranch_execz .LBB48_32
; %bb.7:
	v_lshrrev_b32_e32 v22, 1, v14
	v_lshl_or_b32 v12, s8, 8, v22
	v_mov_b32_e32 v13, 0
	v_cmp_gt_i64_e32 vcc, s[14:15], v[12:13]
	s_and_b64 exec, exec, vcc
	s_cbranch_execz .LBB48_32
; %bb.8:
	s_load_dwordx4 s[0:3], s[6:7], 0x78
	v_lshlrev_b64 v[0:1], 3, v[12:13]
	s_mov_b32 s11, 0
	s_waitcnt lgkmcnt(0)
	v_mov_b32_e32 v3, s1
	v_add_co_u32_e32 v2, vcc, s0, v0
	v_addc_co_u32_e32 v3, vcc, v3, v1, vcc
	global_load_dwordx2 v[2:3], v[2:3], off
	v_mov_b32_e32 v15, s3
	v_add_co_u32_e32 v0, vcc, s2, v0
	v_addc_co_u32_e32 v1, vcc, v15, v1, vcc
	global_load_dwordx2 v[0:1], v[0:1], off
	s_load_dwordx4 s[0:3], s[6:7], 0x0
	s_load_dwordx2 s[4:5], s[6:7], 0x48
	s_waitcnt lgkmcnt(0)
	s_cmp_eq_u32 s2, 1
	s_cselect_b64 s[8:9], -1, 0
	s_cmpk_eq_i32 s0, 0x6f
	s_cselect_b64 s[14:15], -1, 0
	s_cmpk_lg_i32 s0, 0x6f
	s_cselect_b64 s[16:17], -1, 0
	s_cmp_lg_u32 s2, 1
	s_waitcnt vmcnt(1)
	v_subrev_co_u32_e32 v2, vcc, s10, v2
	v_subbrev_co_u32_e32 v3, vcc, 0, v3, vcc
	s_cbranch_scc0 .LBB48_12
; %bb.9:
	s_andn2_b64 vcc, exec, s[14:15]
	v_pk_mov_b32 v[16:17], v[2:3], v[2:3] op_sel:[0,1]
	s_cbranch_vccnz .LBB48_11
; %bb.10:
	v_mul_lo_u32 v15, v3, s4
	v_mul_lo_u32 v18, v2, s5
	v_mad_u64_u32 v[16:17], s[18:19], v2, s4, 0
	v_add3_u32 v17, v17, v18, v15
.LBB48_11:
	s_cbranch_execz .LBB48_13
	s_branch .LBB48_16
.LBB48_12:
                                        ; implicit-def: $vgpr16_vgpr17
.LBB48_13:
	s_andn2_b64 vcc, exec, s[16:17]
	s_cbranch_vccnz .LBB48_15
; %bb.14:
	v_mul_lo_u32 v15, v3, s4
	v_mul_lo_u32 v16, v2, s5
	v_mad_u64_u32 v[2:3], s[16:17], v2, s4, 0
	v_add3_u32 v3, v3, v16, v15
.LBB48_15:
	v_pk_mov_b32 v[16:17], v[2:3], v[2:3] op_sel:[0,1]
.LBB48_16:
	s_cmp_eq_u32 s3, 1
	s_cselect_b64 s[16:17], -1, 0
	s_cmpk_eq_i32 s1, 0x6f
	v_mov_b32_e32 v2, s11
	s_cselect_b64 s[18:19], -1, 0
	s_cmpk_lg_i32 s1, 0x6f
	s_waitcnt vmcnt(0)
	v_subrev_co_u32_e32 v0, vcc, s10, v0
	s_cselect_b64 s[0:1], -1, 0
	s_cmp_lg_u32 s3, 1
	v_subb_co_u32_e32 v1, vcc, v1, v2, vcc
	s_cbranch_scc0 .LBB48_20
; %bb.17:
	s_andn2_b64 vcc, exec, s[0:1]
	v_pk_mov_b32 v[18:19], v[0:1], v[0:1] op_sel:[0,1]
	s_cbranch_vccnz .LBB48_19
; %bb.18:
	v_mul_lo_u32 v2, v1, s20
	v_mul_lo_u32 v3, v0, s21
	v_mad_u64_u32 v[18:19], s[0:1], v0, s20, 0
	v_add3_u32 v19, v19, v3, v2
.LBB48_19:
	s_cbranch_execz .LBB48_21
	s_branch .LBB48_24
.LBB48_20:
                                        ; implicit-def: $vgpr18_vgpr19
.LBB48_21:
	s_andn2_b64 vcc, exec, s[18:19]
	s_cbranch_vccnz .LBB48_23
; %bb.22:
	v_mul_lo_u32 v2, v1, s20
	v_mul_lo_u32 v3, v0, s21
	v_mad_u64_u32 v[0:1], s[0:1], v0, s20, 0
	v_add3_u32 v1, v1, v3, v2
.LBB48_23:
	v_pk_mov_b32 v[18:19], v[0:1], v[0:1] op_sel:[0,1]
.LBB48_24:
	s_load_dwordx2 s[0:1], s[6:7], 0x70
	v_and_b32_e32 v14, 1, v14
	v_mov_b32_e32 v15, 0
	v_pk_mov_b32 v[2:3], 0, 0
	v_cmp_gt_i64_e32 vcc, s[12:13], v[14:15]
	v_pk_mov_b32 v[0:1], v[2:3], v[2:3] op_sel:[0,1]
	s_and_saveexec_b64 s[2:3], vcc
	s_cbranch_execz .LBB48_28
; %bb.25:
	s_load_dwordx2 s[10:11], s[6:7], 0x40
	s_load_dwordx2 s[22:23], s[6:7], 0x50
	s_xor_b64 s[6:7], s[14:15], s[8:9]
	s_and_b64 s[6:7], s[6:7], exec
	s_cselect_b32 s5, 0, s5
	s_cselect_b32 s4, 1, s4
	v_mul_lo_u32 v1, s5, v14
	v_mul_lo_u32 v0, s4, v14
	v_lshlrev_b64 v[0:1], 4, v[0:1]
	v_lshlrev_b64 v[2:3], 4, v[16:17]
	v_add_co_u32_e32 v0, vcc, v0, v2
	v_addc_co_u32_e32 v1, vcc, v1, v3, vcc
	s_xor_b64 s[6:7], s[18:19], s[16:17]
	s_waitcnt lgkmcnt(0)
	v_mov_b32_e32 v2, s11
	v_add_co_u32_e32 v0, vcc, s10, v0
	s_and_b64 s[6:7], s[6:7], exec
	v_addc_co_u32_e32 v1, vcc, v1, v2, vcc
	s_cselect_b32 s7, s21, 0
	s_cselect_b32 s6, s20, 1
	v_add_co_u32_e32 v16, vcc, 8, v0
	v_addc_co_u32_e32 v17, vcc, 0, v1, vcc
	v_mul_lo_u32 v1, s7, v14
	v_mul_lo_u32 v0, s6, v14
	v_lshlrev_b64 v[0:1], 4, v[0:1]
	v_lshlrev_b64 v[2:3], 4, v[18:19]
	v_add_co_u32_e32 v0, vcc, v0, v2
	v_addc_co_u32_e32 v1, vcc, v1, v3, vcc
	v_mov_b32_e32 v2, s23
	v_add_co_u32_e32 v0, vcc, s22, v0
	v_addc_co_u32_e32 v1, vcc, v1, v2, vcc
	s_lshl_b64 s[4:5], s[4:5], 5
	v_add_co_u32_e32 v18, vcc, 8, v0
	s_lshl_b64 s[8:9], s[6:7], 5
	v_pk_mov_b32 v[2:3], 0, 0
	v_addc_co_u32_e32 v19, vcc, 0, v1, vcc
	s_mov_b64 s[6:7], 0
	v_mov_b32_e32 v23, s5
	v_mov_b32_e32 v24, s9
	v_pk_mov_b32 v[20:21], v[14:15], v[14:15] op_sel:[0,1]
	v_pk_mov_b32 v[0:1], v[2:3], v[2:3] op_sel:[0,1]
.LBB48_26:                              ; =>This Inner Loop Header: Depth=1
	global_load_dwordx4 v[26:29], v[18:19], off offset:-8
	global_load_dwordx4 v[30:33], v[16:17], off offset:-8
	v_add_co_u32_e32 v20, vcc, 2, v20
	v_addc_co_u32_e32 v21, vcc, 0, v21, vcc
	v_add_co_u32_e32 v16, vcc, s4, v16
	v_addc_co_u32_e32 v17, vcc, v17, v23, vcc
	;; [unrolled: 2-line block ×3, first 2 shown]
	v_cmp_le_i64_e32 vcc, s[12:13], v[20:21]
	s_or_b64 s[6:7], vcc, s[6:7]
	s_waitcnt vmcnt(0)
	v_mul_f64 v[34:35], v[28:29], -v[32:33]
	v_mul_f64 v[28:29], v[28:29], v[30:31]
	v_fmac_f64_e32 v[34:35], v[30:31], v[26:27]
	v_fmac_f64_e32 v[28:29], v[32:33], v[26:27]
	v_add_f64 v[0:1], v[0:1], v[34:35]
	v_add_f64 v[2:3], v[2:3], v[28:29]
	s_andn2_b64 exec, exec, s[6:7]
	s_cbranch_execnz .LBB48_26
; %bb.27:
	s_or_b64 exec, exec, s[6:7]
.LBB48_28:
	s_or_b64 exec, exec, s[2:3]
	v_lshlrev_b32_e32 v15, 5, v22
	v_lshl_or_b32 v16, v14, 4, v15
	v_cmp_eq_u32_e32 vcc, 0, v14
	ds_write_b128 v16, v[0:3]
	s_waitcnt lgkmcnt(0)
	s_barrier
	s_and_saveexec_b64 s[2:3], vcc
	s_cbranch_execz .LBB48_30
; %bb.29:
	ds_read_b128 v[0:3], v15 offset:16
	ds_read_b128 v[18:21], v16
	s_waitcnt lgkmcnt(0)
	v_add_f64 v[0:1], v[0:1], v[18:19]
	v_add_f64 v[2:3], v[2:3], v[20:21]
	ds_write_b128 v16, v[0:3]
.LBB48_30:
	s_or_b64 exec, exec, s[2:3]
	s_waitcnt lgkmcnt(0)
	s_barrier
	s_and_b64 exec, exec, vcc
	s_cbranch_execz .LBB48_32
; %bb.31:
	v_lshlrev_b64 v[0:1], 4, v[12:13]
	v_mov_b32_e32 v2, s1
	v_add_co_u32_e32 v16, vcc, s0, v0
	v_addc_co_u32_e32 v17, vcc, v2, v1, vcc
	global_load_dwordx4 v[0:3], v[16:17], off
	ds_read_b128 v[12:15], v15
	s_waitcnt lgkmcnt(0)
	v_mul_f64 v[18:19], v[14:15], -v[6:7]
	v_mul_f64 v[14:15], v[4:5], v[14:15]
	v_fmac_f64_e32 v[18:19], v[4:5], v[12:13]
	v_fmac_f64_e32 v[14:15], v[6:7], v[12:13]
	s_waitcnt vmcnt(0)
	v_mul_f64 v[4:5], v[10:11], -v[2:3]
	v_mul_f64 v[6:7], v[10:11], v[0:1]
	v_fmac_f64_e32 v[4:5], v[0:1], v[8:9]
	v_fmac_f64_e32 v[6:7], v[2:3], v[8:9]
	v_add_f64 v[0:1], v[4:5], v[18:19]
	v_add_f64 v[2:3], v[6:7], v[14:15]
	global_store_dwordx4 v[16:17], v[0:3], off
.LBB48_32:
	s_endpgm
	.section	.rodata,"a",@progbits
	.p2align	6, 0x0
	.amdhsa_kernel _ZN9rocsparseL17sddmm_coox_kernelILi512ELi2ELb0E21rocsparse_complex_numIdEllS2_S2_S2_EEv20rocsparse_operation_S3_16rocsparse_order_S4_T4_S5_S5_T3_NS_24const_host_device_scalarIT2_EEPKT5_lPKT6_lS9_PT7_PKS6_SJ_21rocsparse_index_base_b
		.amdhsa_group_segment_fixed_size 16384
		.amdhsa_private_segment_fixed_size 0
		.amdhsa_kernarg_size 144
		.amdhsa_user_sgpr_count 8
		.amdhsa_user_sgpr_private_segment_buffer 1
		.amdhsa_user_sgpr_dispatch_ptr 1
		.amdhsa_user_sgpr_queue_ptr 0
		.amdhsa_user_sgpr_kernarg_segment_ptr 1
		.amdhsa_user_sgpr_dispatch_id 0
		.amdhsa_user_sgpr_flat_scratch_init 0
		.amdhsa_user_sgpr_kernarg_preload_length 0
		.amdhsa_user_sgpr_kernarg_preload_offset 0
		.amdhsa_user_sgpr_private_segment_size 0
		.amdhsa_uses_dynamic_stack 0
		.amdhsa_system_sgpr_private_segment_wavefront_offset 0
		.amdhsa_system_sgpr_workgroup_id_x 1
		.amdhsa_system_sgpr_workgroup_id_y 0
		.amdhsa_system_sgpr_workgroup_id_z 0
		.amdhsa_system_sgpr_workgroup_info 0
		.amdhsa_system_vgpr_workitem_id 2
		.amdhsa_next_free_vgpr 36
		.amdhsa_next_free_sgpr 26
		.amdhsa_accum_offset 36
		.amdhsa_reserve_vcc 1
		.amdhsa_reserve_flat_scratch 0
		.amdhsa_float_round_mode_32 0
		.amdhsa_float_round_mode_16_64 0
		.amdhsa_float_denorm_mode_32 3
		.amdhsa_float_denorm_mode_16_64 3
		.amdhsa_dx10_clamp 1
		.amdhsa_ieee_mode 1
		.amdhsa_fp16_overflow 0
		.amdhsa_tg_split 0
		.amdhsa_exception_fp_ieee_invalid_op 0
		.amdhsa_exception_fp_denorm_src 0
		.amdhsa_exception_fp_ieee_div_zero 0
		.amdhsa_exception_fp_ieee_overflow 0
		.amdhsa_exception_fp_ieee_underflow 0
		.amdhsa_exception_fp_ieee_inexact 0
		.amdhsa_exception_int_div_zero 0
	.end_amdhsa_kernel
	.section	.text._ZN9rocsparseL17sddmm_coox_kernelILi512ELi2ELb0E21rocsparse_complex_numIdEllS2_S2_S2_EEv20rocsparse_operation_S3_16rocsparse_order_S4_T4_S5_S5_T3_NS_24const_host_device_scalarIT2_EEPKT5_lPKT6_lS9_PT7_PKS6_SJ_21rocsparse_index_base_b,"axG",@progbits,_ZN9rocsparseL17sddmm_coox_kernelILi512ELi2ELb0E21rocsparse_complex_numIdEllS2_S2_S2_EEv20rocsparse_operation_S3_16rocsparse_order_S4_T4_S5_S5_T3_NS_24const_host_device_scalarIT2_EEPKT5_lPKT6_lS9_PT7_PKS6_SJ_21rocsparse_index_base_b,comdat
.Lfunc_end48:
	.size	_ZN9rocsparseL17sddmm_coox_kernelILi512ELi2ELb0E21rocsparse_complex_numIdEllS2_S2_S2_EEv20rocsparse_operation_S3_16rocsparse_order_S4_T4_S5_S5_T3_NS_24const_host_device_scalarIT2_EEPKT5_lPKT6_lS9_PT7_PKS6_SJ_21rocsparse_index_base_b, .Lfunc_end48-_ZN9rocsparseL17sddmm_coox_kernelILi512ELi2ELb0E21rocsparse_complex_numIdEllS2_S2_S2_EEv20rocsparse_operation_S3_16rocsparse_order_S4_T4_S5_S5_T3_NS_24const_host_device_scalarIT2_EEPKT5_lPKT6_lS9_PT7_PKS6_SJ_21rocsparse_index_base_b
                                        ; -- End function
	.section	.AMDGPU.csdata,"",@progbits
; Kernel info:
; codeLenInByte = 1344
; NumSgprs: 30
; NumVgprs: 36
; NumAgprs: 0
; TotalNumVgprs: 36
; ScratchSize: 0
; MemoryBound: 0
; FloatMode: 240
; IeeeMode: 1
; LDSByteSize: 16384 bytes/workgroup (compile time only)
; SGPRBlocks: 3
; VGPRBlocks: 4
; NumSGPRsForWavesPerEU: 30
; NumVGPRsForWavesPerEU: 36
; AccumOffset: 36
; Occupancy: 8
; WaveLimiterHint : 1
; COMPUTE_PGM_RSRC2:SCRATCH_EN: 0
; COMPUTE_PGM_RSRC2:USER_SGPR: 8
; COMPUTE_PGM_RSRC2:TRAP_HANDLER: 0
; COMPUTE_PGM_RSRC2:TGID_X_EN: 1
; COMPUTE_PGM_RSRC2:TGID_Y_EN: 0
; COMPUTE_PGM_RSRC2:TGID_Z_EN: 0
; COMPUTE_PGM_RSRC2:TIDIG_COMP_CNT: 2
; COMPUTE_PGM_RSRC3_GFX90A:ACCUM_OFFSET: 8
; COMPUTE_PGM_RSRC3_GFX90A:TG_SPLIT: 0
	.section	.text._ZN9rocsparseL17sddmm_coox_kernelILi512ELi1ELb0E21rocsparse_complex_numIdEllS2_S2_S2_EEv20rocsparse_operation_S3_16rocsparse_order_S4_T4_S5_S5_T3_NS_24const_host_device_scalarIT2_EEPKT5_lPKT6_lS9_PT7_PKS6_SJ_21rocsparse_index_base_b,"axG",@progbits,_ZN9rocsparseL17sddmm_coox_kernelILi512ELi1ELb0E21rocsparse_complex_numIdEllS2_S2_S2_EEv20rocsparse_operation_S3_16rocsparse_order_S4_T4_S5_S5_T3_NS_24const_host_device_scalarIT2_EEPKT5_lPKT6_lS9_PT7_PKS6_SJ_21rocsparse_index_base_b,comdat
	.globl	_ZN9rocsparseL17sddmm_coox_kernelILi512ELi1ELb0E21rocsparse_complex_numIdEllS2_S2_S2_EEv20rocsparse_operation_S3_16rocsparse_order_S4_T4_S5_S5_T3_NS_24const_host_device_scalarIT2_EEPKT5_lPKT6_lS9_PT7_PKS6_SJ_21rocsparse_index_base_b ; -- Begin function _ZN9rocsparseL17sddmm_coox_kernelILi512ELi1ELb0E21rocsparse_complex_numIdEllS2_S2_S2_EEv20rocsparse_operation_S3_16rocsparse_order_S4_T4_S5_S5_T3_NS_24const_host_device_scalarIT2_EEPKT5_lPKT6_lS9_PT7_PKS6_SJ_21rocsparse_index_base_b
	.p2align	8
	.type	_ZN9rocsparseL17sddmm_coox_kernelILi512ELi1ELb0E21rocsparse_complex_numIdEllS2_S2_S2_EEv20rocsparse_operation_S3_16rocsparse_order_S4_T4_S5_S5_T3_NS_24const_host_device_scalarIT2_EEPKT5_lPKT6_lS9_PT7_PKS6_SJ_21rocsparse_index_base_b,@function
_ZN9rocsparseL17sddmm_coox_kernelILi512ELi1ELb0E21rocsparse_complex_numIdEllS2_S2_S2_EEv20rocsparse_operation_S3_16rocsparse_order_S4_T4_S5_S5_T3_NS_24const_host_device_scalarIT2_EEPKT5_lPKT6_lS9_PT7_PKS6_SJ_21rocsparse_index_base_b: ; @_ZN9rocsparseL17sddmm_coox_kernelILi512ELi1ELb0E21rocsparse_complex_numIdEllS2_S2_S2_EEv20rocsparse_operation_S3_16rocsparse_order_S4_T4_S5_S5_T3_NS_24const_host_device_scalarIT2_EEPKT5_lPKT6_lS9_PT7_PKS6_SJ_21rocsparse_index_base_b
; %bb.0:
	s_load_dwordx2 s[10:11], s[6:7], 0x88
	s_load_dwordx8 s[12:19], s[6:7], 0x20
	s_load_dwordx4 s[20:23], s[6:7], 0x58
	s_load_dwordx2 s[2:3], s[6:7], 0x68
	s_mov_b64 s[24:25], src_shared_base
	s_load_dwordx2 s[4:5], s[4:5], 0x4
	s_waitcnt lgkmcnt(0)
	s_bitcmp1_b32 s11, 0
	s_cselect_b64 s[0:1], -1, 0
	s_and_b64 vcc, s[0:1], exec
	s_cselect_b32 s9, s25, s17
	s_lshr_b32 s4, s4, 16
	v_and_b32_e32 v18, 0x3ff, v0
	s_mul_i32 s4, s4, s5
	v_mul_lo_u32 v1, s4, v18
	v_bfe_u32 v2, v0, 10, 10
	v_mad_u32_u24 v1, v2, s5, v1
	v_bfe_u32 v0, v0, 20, 10
	v_add_lshl_u32 v6, v1, v0, 3
	v_mov_b32_e32 v4, s16
	v_add_u32_e32 v5, 0x3000, v6
	v_pk_mov_b32 v[0:1], s[16:17], s[16:17] op_sel:[0,1]
	v_pk_mov_b32 v[2:3], s[22:23], s[22:23] op_sel:[0,1]
	ds_write2st64_b64 v6, v[2:3], v[0:1] offset0:16 offset1:24
	v_cndmask_b32_e64 v0, v4, v5, s[0:1]
	v_mov_b32_e32 v1, s9
	flat_load_dwordx2 v[4:5], v[0:1]
	s_xor_b64 s[4:5], s[0:1], -1
	v_add_u32_e32 v0, 0x2000, v6
	v_pk_mov_b32 v[6:7], s[18:19], s[18:19] op_sel:[0,1]
	s_cbranch_vccnz .LBB49_2
; %bb.1:
	v_pk_mov_b32 v[2:3], s[16:17], s[16:17] op_sel:[0,1]
	flat_load_dwordx2 v[6:7], v[2:3] offset:8
.LBB49_2:
	s_and_b64 s[16:17], s[0:1], exec
	s_cselect_b32 s9, s25, s23
	v_mov_b32_e32 v1, s22
	v_cndmask_b32_e64 v0, v1, v0, s[0:1]
	v_mov_b32_e32 v1, s9
	flat_load_dwordx2 v[8:9], v[0:1]
	s_andn2_b64 vcc, exec, s[4:5]
	v_pk_mov_b32 v[10:11], s[2:3], s[2:3] op_sel:[0,1]
	s_cbranch_vccnz .LBB49_4
; %bb.3:
	v_pk_mov_b32 v[0:1], s[22:23], s[22:23] op_sel:[0,1]
	flat_load_dwordx2 v[10:11], v[0:1] offset:8
.LBB49_4:
	s_waitcnt vmcnt(0) lgkmcnt(0)
	v_cmp_eq_f64_e32 vcc, 0, v[4:5]
	v_cmp_eq_f64_e64 s[0:1], 0, v[6:7]
	s_and_b64 s[4:5], vcc, s[0:1]
	s_mov_b64 s[0:1], -1
	s_and_saveexec_b64 s[2:3], s[4:5]
; %bb.5:
	v_cmp_neq_f64_e32 vcc, 1.0, v[8:9]
	v_cmp_neq_f64_e64 s[0:1], 0, v[10:11]
	s_or_b64 s[0:1], vcc, s[0:1]
	s_orn2_b64 s[0:1], s[0:1], exec
; %bb.6:
	s_or_b64 exec, exec, s[2:3]
	s_and_saveexec_b64 s[2:3], s[0:1]
	s_cbranch_execz .LBB49_28
; %bb.7:
	v_lshl_or_b32 v12, s8, 9, v18
	v_mov_b32_e32 v13, 0
	v_cmp_gt_i64_e32 vcc, s[14:15], v[12:13]
	s_and_b64 exec, exec, vcc
	s_cbranch_execz .LBB49_28
; %bb.8:
	s_load_dwordx4 s[0:3], s[6:7], 0x78
	v_lshlrev_b64 v[0:1], 3, v[12:13]
	s_mov_b32 s11, 0
	s_waitcnt lgkmcnt(0)
	v_mov_b32_e32 v3, s1
	v_add_co_u32_e32 v2, vcc, s0, v0
	v_addc_co_u32_e32 v3, vcc, v3, v1, vcc
	global_load_dwordx2 v[2:3], v[2:3], off
	v_mov_b32_e32 v14, s3
	v_add_co_u32_e32 v0, vcc, s2, v0
	v_addc_co_u32_e32 v1, vcc, v14, v1, vcc
	global_load_dwordx2 v[0:1], v[0:1], off
	s_load_dwordx4 s[0:3], s[6:7], 0x0
	s_load_dwordx2 s[4:5], s[6:7], 0x48
	s_waitcnt lgkmcnt(0)
	s_cmp_eq_u32 s2, 1
	s_cselect_b64 s[8:9], -1, 0
	s_cmpk_eq_i32 s0, 0x6f
	s_cselect_b64 s[14:15], -1, 0
	s_cmpk_lg_i32 s0, 0x6f
	s_cselect_b64 s[16:17], -1, 0
	s_cmp_lg_u32 s2, 1
	s_waitcnt vmcnt(1)
	v_subrev_co_u32_e32 v2, vcc, s10, v2
	v_subbrev_co_u32_e32 v3, vcc, 0, v3, vcc
	s_cbranch_scc0 .LBB49_12
; %bb.9:
	s_andn2_b64 vcc, exec, s[14:15]
	v_pk_mov_b32 v[14:15], v[2:3], v[2:3] op_sel:[0,1]
	s_cbranch_vccnz .LBB49_11
; %bb.10:
	v_mul_lo_u32 v16, v3, s4
	v_mul_lo_u32 v17, v2, s5
	v_mad_u64_u32 v[14:15], s[18:19], v2, s4, 0
	v_add3_u32 v15, v15, v17, v16
.LBB49_11:
	s_cbranch_execz .LBB49_13
	s_branch .LBB49_16
.LBB49_12:
                                        ; implicit-def: $vgpr14_vgpr15
.LBB49_13:
	s_andn2_b64 vcc, exec, s[16:17]
	s_cbranch_vccnz .LBB49_15
; %bb.14:
	v_mul_lo_u32 v14, v3, s4
	v_mul_lo_u32 v15, v2, s5
	v_mad_u64_u32 v[2:3], s[16:17], v2, s4, 0
	v_add3_u32 v3, v3, v15, v14
.LBB49_15:
	v_pk_mov_b32 v[14:15], v[2:3], v[2:3] op_sel:[0,1]
.LBB49_16:
	s_cmp_eq_u32 s3, 1
	s_cselect_b64 s[16:17], -1, 0
	s_cmpk_eq_i32 s1, 0x6f
	v_mov_b32_e32 v2, s11
	s_cselect_b64 s[18:19], -1, 0
	s_cmpk_lg_i32 s1, 0x6f
	s_waitcnt vmcnt(0)
	v_subrev_co_u32_e32 v0, vcc, s10, v0
	s_cselect_b64 s[0:1], -1, 0
	s_cmp_lg_u32 s3, 1
	v_subb_co_u32_e32 v1, vcc, v1, v2, vcc
	s_cbranch_scc0 .LBB49_20
; %bb.17:
	s_andn2_b64 vcc, exec, s[0:1]
	v_pk_mov_b32 v[16:17], v[0:1], v[0:1] op_sel:[0,1]
	s_cbranch_vccnz .LBB49_19
; %bb.18:
	v_mul_lo_u32 v2, v1, s20
	v_mul_lo_u32 v3, v0, s21
	v_mad_u64_u32 v[16:17], s[0:1], v0, s20, 0
	v_add3_u32 v17, v17, v3, v2
.LBB49_19:
	s_cbranch_execz .LBB49_21
	s_branch .LBB49_24
.LBB49_20:
                                        ; implicit-def: $vgpr16_vgpr17
.LBB49_21:
	s_andn2_b64 vcc, exec, s[18:19]
	s_cbranch_vccnz .LBB49_23
; %bb.22:
	v_mul_lo_u32 v2, v1, s20
	v_mul_lo_u32 v3, v0, s21
	v_mad_u64_u32 v[0:1], s[0:1], v0, s20, 0
	v_add3_u32 v1, v1, v3, v2
.LBB49_23:
	v_pk_mov_b32 v[16:17], v[0:1], v[0:1] op_sel:[0,1]
.LBB49_24:
	s_load_dwordx2 s[0:1], s[6:7], 0x70
	v_cmp_lt_i64_e64 s[2:3], s[12:13], 1
	v_pk_mov_b32 v[2:3], 0, 0
	s_and_b64 vcc, exec, s[2:3]
	v_pk_mov_b32 v[0:1], v[2:3], v[2:3] op_sel:[0,1]
	s_cbranch_vccnz .LBB49_27
; %bb.25:
	s_load_dwordx2 s[10:11], s[6:7], 0x40
	s_load_dwordx2 s[2:3], s[6:7], 0x50
	v_lshlrev_b64 v[0:1], 4, v[16:17]
	s_xor_b64 s[6:7], s[14:15], s[8:9]
	s_and_b64 s[6:7], s[6:7], exec
	s_cselect_b32 s5, 0, s5
	s_waitcnt lgkmcnt(0)
	v_mov_b32_e32 v2, s3
	v_add_co_u32_e32 v0, vcc, s2, v0
	v_addc_co_u32_e32 v1, vcc, v1, v2, vcc
	v_add_co_u32_e32 v16, vcc, 8, v0
	s_cselect_b32 s4, 1, s4
	s_xor_b64 s[6:7], s[18:19], s[16:17]
	v_addc_co_u32_e32 v17, vcc, 0, v1, vcc
	v_lshlrev_b64 v[0:1], 4, v[14:15]
	s_and_b64 s[6:7], s[6:7], exec
	v_mov_b32_e32 v2, s11
	v_add_co_u32_e32 v0, vcc, s10, v0
	s_cselect_b32 s7, s21, 0
	s_cselect_b32 s6, s20, 1
	v_addc_co_u32_e32 v1, vcc, v1, v2, vcc
	s_lshl_b64 s[2:3], s[6:7], 4
	v_add_co_u32_e32 v14, vcc, 8, v0
	s_lshl_b64 s[4:5], s[4:5], 4
	v_pk_mov_b32 v[2:3], 0, 0
	v_addc_co_u32_e32 v15, vcc, 0, v1, vcc
	v_mov_b32_e32 v19, s3
	v_mov_b32_e32 v20, s5
	v_pk_mov_b32 v[0:1], v[2:3], v[2:3] op_sel:[0,1]
.LBB49_26:                              ; =>This Inner Loop Header: Depth=1
	global_load_dwordx4 v[22:25], v[16:17], off offset:-8
	global_load_dwordx4 v[26:29], v[14:15], off offset:-8
	v_add_co_u32_e32 v16, vcc, s2, v16
	s_add_u32 s12, s12, -1
	v_addc_co_u32_e32 v17, vcc, v17, v19, vcc
	v_add_co_u32_e32 v14, vcc, s4, v14
	s_addc_u32 s13, s13, -1
	v_addc_co_u32_e32 v15, vcc, v15, v20, vcc
	s_cmp_eq_u64 s[12:13], 0
	s_waitcnt vmcnt(0)
	v_mul_f64 v[30:31], v[24:25], -v[28:29]
	v_mul_f64 v[24:25], v[24:25], v[26:27]
	v_fmac_f64_e32 v[30:31], v[26:27], v[22:23]
	v_fmac_f64_e32 v[24:25], v[28:29], v[22:23]
	v_add_f64 v[0:1], v[0:1], v[30:31]
	v_add_f64 v[2:3], v[2:3], v[24:25]
	s_cbranch_scc0 .LBB49_26
.LBB49_27:
	v_lshlrev_b32_e32 v14, 4, v18
	ds_write_b128 v14, v[0:3]
	v_lshlrev_b64 v[0:1], 4, v[12:13]
	s_waitcnt lgkmcnt(0)
	v_mov_b32_e32 v2, s1
	v_add_co_u32_e32 v16, vcc, s0, v0
	v_addc_co_u32_e32 v17, vcc, v2, v1, vcc
	s_barrier
	global_load_dwordx4 v[0:3], v[16:17], off
	ds_read_b128 v[12:15], v14
	s_waitcnt lgkmcnt(0)
	v_mul_f64 v[18:19], v[14:15], -v[6:7]
	v_mul_f64 v[14:15], v[4:5], v[14:15]
	v_fmac_f64_e32 v[18:19], v[4:5], v[12:13]
	v_fmac_f64_e32 v[14:15], v[6:7], v[12:13]
	s_waitcnt vmcnt(0)
	v_mul_f64 v[4:5], v[10:11], -v[2:3]
	v_mul_f64 v[6:7], v[10:11], v[0:1]
	v_fmac_f64_e32 v[4:5], v[0:1], v[8:9]
	v_fmac_f64_e32 v[6:7], v[2:3], v[8:9]
	v_add_f64 v[0:1], v[4:5], v[18:19]
	v_add_f64 v[2:3], v[6:7], v[14:15]
	global_store_dwordx4 v[16:17], v[0:3], off
.LBB49_28:
	s_endpgm
	.section	.rodata,"a",@progbits
	.p2align	6, 0x0
	.amdhsa_kernel _ZN9rocsparseL17sddmm_coox_kernelILi512ELi1ELb0E21rocsparse_complex_numIdEllS2_S2_S2_EEv20rocsparse_operation_S3_16rocsparse_order_S4_T4_S5_S5_T3_NS_24const_host_device_scalarIT2_EEPKT5_lPKT6_lS9_PT7_PKS6_SJ_21rocsparse_index_base_b
		.amdhsa_group_segment_fixed_size 16384
		.amdhsa_private_segment_fixed_size 0
		.amdhsa_kernarg_size 144
		.amdhsa_user_sgpr_count 8
		.amdhsa_user_sgpr_private_segment_buffer 1
		.amdhsa_user_sgpr_dispatch_ptr 1
		.amdhsa_user_sgpr_queue_ptr 0
		.amdhsa_user_sgpr_kernarg_segment_ptr 1
		.amdhsa_user_sgpr_dispatch_id 0
		.amdhsa_user_sgpr_flat_scratch_init 0
		.amdhsa_user_sgpr_kernarg_preload_length 0
		.amdhsa_user_sgpr_kernarg_preload_offset 0
		.amdhsa_user_sgpr_private_segment_size 0
		.amdhsa_uses_dynamic_stack 0
		.amdhsa_system_sgpr_private_segment_wavefront_offset 0
		.amdhsa_system_sgpr_workgroup_id_x 1
		.amdhsa_system_sgpr_workgroup_id_y 0
		.amdhsa_system_sgpr_workgroup_id_z 0
		.amdhsa_system_sgpr_workgroup_info 0
		.amdhsa_system_vgpr_workitem_id 2
		.amdhsa_next_free_vgpr 32
		.amdhsa_next_free_sgpr 26
		.amdhsa_accum_offset 32
		.amdhsa_reserve_vcc 1
		.amdhsa_reserve_flat_scratch 0
		.amdhsa_float_round_mode_32 0
		.amdhsa_float_round_mode_16_64 0
		.amdhsa_float_denorm_mode_32 3
		.amdhsa_float_denorm_mode_16_64 3
		.amdhsa_dx10_clamp 1
		.amdhsa_ieee_mode 1
		.amdhsa_fp16_overflow 0
		.amdhsa_tg_split 0
		.amdhsa_exception_fp_ieee_invalid_op 0
		.amdhsa_exception_fp_denorm_src 0
		.amdhsa_exception_fp_ieee_div_zero 0
		.amdhsa_exception_fp_ieee_overflow 0
		.amdhsa_exception_fp_ieee_underflow 0
		.amdhsa_exception_fp_ieee_inexact 0
		.amdhsa_exception_int_div_zero 0
	.end_amdhsa_kernel
	.section	.text._ZN9rocsparseL17sddmm_coox_kernelILi512ELi1ELb0E21rocsparse_complex_numIdEllS2_S2_S2_EEv20rocsparse_operation_S3_16rocsparse_order_S4_T4_S5_S5_T3_NS_24const_host_device_scalarIT2_EEPKT5_lPKT6_lS9_PT7_PKS6_SJ_21rocsparse_index_base_b,"axG",@progbits,_ZN9rocsparseL17sddmm_coox_kernelILi512ELi1ELb0E21rocsparse_complex_numIdEllS2_S2_S2_EEv20rocsparse_operation_S3_16rocsparse_order_S4_T4_S5_S5_T3_NS_24const_host_device_scalarIT2_EEPKT5_lPKT6_lS9_PT7_PKS6_SJ_21rocsparse_index_base_b,comdat
.Lfunc_end49:
	.size	_ZN9rocsparseL17sddmm_coox_kernelILi512ELi1ELb0E21rocsparse_complex_numIdEllS2_S2_S2_EEv20rocsparse_operation_S3_16rocsparse_order_S4_T4_S5_S5_T3_NS_24const_host_device_scalarIT2_EEPKT5_lPKT6_lS9_PT7_PKS6_SJ_21rocsparse_index_base_b, .Lfunc_end49-_ZN9rocsparseL17sddmm_coox_kernelILi512ELi1ELb0E21rocsparse_complex_numIdEllS2_S2_S2_EEv20rocsparse_operation_S3_16rocsparse_order_S4_T4_S5_S5_T3_NS_24const_host_device_scalarIT2_EEPKT5_lPKT6_lS9_PT7_PKS6_SJ_21rocsparse_index_base_b
                                        ; -- End function
	.section	.AMDGPU.csdata,"",@progbits
; Kernel info:
; codeLenInByte = 1160
; NumSgprs: 30
; NumVgprs: 32
; NumAgprs: 0
; TotalNumVgprs: 32
; ScratchSize: 0
; MemoryBound: 0
; FloatMode: 240
; IeeeMode: 1
; LDSByteSize: 16384 bytes/workgroup (compile time only)
; SGPRBlocks: 3
; VGPRBlocks: 3
; NumSGPRsForWavesPerEU: 30
; NumVGPRsForWavesPerEU: 32
; AccumOffset: 32
; Occupancy: 8
; WaveLimiterHint : 1
; COMPUTE_PGM_RSRC2:SCRATCH_EN: 0
; COMPUTE_PGM_RSRC2:USER_SGPR: 8
; COMPUTE_PGM_RSRC2:TRAP_HANDLER: 0
; COMPUTE_PGM_RSRC2:TGID_X_EN: 1
; COMPUTE_PGM_RSRC2:TGID_Y_EN: 0
; COMPUTE_PGM_RSRC2:TGID_Z_EN: 0
; COMPUTE_PGM_RSRC2:TIDIG_COMP_CNT: 2
; COMPUTE_PGM_RSRC3_GFX90A:ACCUM_OFFSET: 7
; COMPUTE_PGM_RSRC3_GFX90A:TG_SPLIT: 0
	.section	.text._ZN9rocsparseL17sddmm_coox_kernelILi512ELi8ELb0EfiiDF16_DF16_fEEv20rocsparse_operation_S1_16rocsparse_order_S2_T4_S3_S3_T3_NS_24const_host_device_scalarIT2_EEPKT5_lPKT6_lS7_PT7_PKS4_SH_21rocsparse_index_base_b,"axG",@progbits,_ZN9rocsparseL17sddmm_coox_kernelILi512ELi8ELb0EfiiDF16_DF16_fEEv20rocsparse_operation_S1_16rocsparse_order_S2_T4_S3_S3_T3_NS_24const_host_device_scalarIT2_EEPKT5_lPKT6_lS7_PT7_PKS4_SH_21rocsparse_index_base_b,comdat
	.globl	_ZN9rocsparseL17sddmm_coox_kernelILi512ELi8ELb0EfiiDF16_DF16_fEEv20rocsparse_operation_S1_16rocsparse_order_S2_T4_S3_S3_T3_NS_24const_host_device_scalarIT2_EEPKT5_lPKT6_lS7_PT7_PKS4_SH_21rocsparse_index_base_b ; -- Begin function _ZN9rocsparseL17sddmm_coox_kernelILi512ELi8ELb0EfiiDF16_DF16_fEEv20rocsparse_operation_S1_16rocsparse_order_S2_T4_S3_S3_T3_NS_24const_host_device_scalarIT2_EEPKT5_lPKT6_lS7_PT7_PKS4_SH_21rocsparse_index_base_b
	.p2align	8
	.type	_ZN9rocsparseL17sddmm_coox_kernelILi512ELi8ELb0EfiiDF16_DF16_fEEv20rocsparse_operation_S1_16rocsparse_order_S2_T4_S3_S3_T3_NS_24const_host_device_scalarIT2_EEPKT5_lPKT6_lS7_PT7_PKS4_SH_21rocsparse_index_base_b,@function
_ZN9rocsparseL17sddmm_coox_kernelILi512ELi8ELb0EfiiDF16_DF16_fEEv20rocsparse_operation_S1_16rocsparse_order_S2_T4_S3_S3_T3_NS_24const_host_device_scalarIT2_EEPKT5_lPKT6_lS7_PT7_PKS4_SH_21rocsparse_index_base_b: ; @_ZN9rocsparseL17sddmm_coox_kernelILi512ELi8ELb0EfiiDF16_DF16_fEEv20rocsparse_operation_S1_16rocsparse_order_S2_T4_S3_S3_T3_NS_24const_host_device_scalarIT2_EEPKT5_lPKT6_lS7_PT7_PKS4_SH_21rocsparse_index_base_b
; %bb.0:
	s_load_dwordx2 s[20:21], s[4:5], 0x68
	s_load_dwordx2 s[12:13], s[4:5], 0x20
	s_load_dwordx4 s[0:3], s[4:5], 0x40
	s_waitcnt lgkmcnt(0)
	s_bitcmp1_b32 s21, 0
	s_cselect_b64 s[10:11], -1, 0
	s_xor_b64 s[8:9], s[10:11], -1
	s_and_b64 vcc, exec, s[10:11]
	s_cbranch_vccnz .LBB50_2
; %bb.1:
	s_load_dword s12, s[12:13], 0x0
.LBB50_2:
	s_andn2_b64 vcc, exec, s[8:9]
	s_cbranch_vccnz .LBB50_4
; %bb.3:
	s_load_dword s2, s[2:3], 0x0
.LBB50_4:
	s_waitcnt lgkmcnt(0)
	v_cmp_eq_f32_e64 s[8:9], s12, 0
	v_cmp_eq_f32_e64 s[10:11], s2, 1.0
	s_and_b64 s[8:9], s[8:9], s[10:11]
	s_and_b64 vcc, exec, s[8:9]
	s_cbranch_vccnz .LBB50_34
; %bb.5:
	s_load_dwordx2 s[14:15], s[4:5], 0x18
	v_lshrrev_b32_e32 v10, 3, v0
	v_lshl_or_b32 v2, s6, 6, v10
	s_waitcnt lgkmcnt(0)
	v_cmp_gt_i32_e32 vcc, s15, v2
	s_and_saveexec_b64 s[6:7], vcc
	s_cbranch_execz .LBB50_34
; %bb.6:
	s_load_dwordx4 s[8:11], s[4:5], 0x58
	v_ashrrev_i32_e32 v3, 31, v2
	v_lshlrev_b64 v[2:3], 2, v[2:3]
	s_waitcnt lgkmcnt(0)
	v_mov_b32_e32 v1, s9
	v_add_co_u32_e32 v4, vcc, s8, v2
	v_addc_co_u32_e32 v5, vcc, v1, v3, vcc
	global_load_dword v6, v[4:5], off
	v_mov_b32_e32 v1, s11
	v_add_co_u32_e32 v4, vcc, s10, v2
	v_addc_co_u32_e32 v5, vcc, v1, v3, vcc
	global_load_dword v1, v[4:5], off
	s_load_dwordx4 s[8:11], s[4:5], 0x0
	s_load_dwordx2 s[6:7], s[4:5], 0x30
	s_waitcnt lgkmcnt(0)
	s_cmp_eq_u32 s10, 1
	s_cselect_b64 s[16:17], -1, 0
	s_cmpk_eq_i32 s8, 0x6f
	s_cselect_b64 s[18:19], -1, 0
	s_cmpk_lg_i32 s8, 0x6f
	s_cselect_b64 s[22:23], -1, 0
	s_cmp_lg_u32 s10, 1
	s_waitcnt vmcnt(1)
	v_subrev_u32_e32 v6, s20, v6
	v_ashrrev_i32_e32 v7, 31, v6
	s_cbranch_scc0 .LBB50_10
; %bb.7:
	s_andn2_b64 vcc, exec, s[18:19]
	v_pk_mov_b32 v[4:5], v[6:7], v[6:7] op_sel:[0,1]
	s_cbranch_vccnz .LBB50_9
; %bb.8:
	v_mul_lo_u32 v8, v7, s6
	v_mul_lo_u32 v9, v6, s7
	v_mad_u64_u32 v[4:5], s[24:25], v6, s6, 0
	v_add3_u32 v5, v5, v9, v8
.LBB50_9:
	s_cbranch_execz .LBB50_11
	s_branch .LBB50_14
.LBB50_10:
                                        ; implicit-def: $vgpr4_vgpr5
.LBB50_11:
	s_andn2_b64 vcc, exec, s[22:23]
	s_cbranch_vccnz .LBB50_13
; %bb.12:
	v_mul_lo_u32 v4, v7, s6
	v_mul_lo_u32 v5, v6, s7
	v_mad_u64_u32 v[6:7], s[22:23], v6, s6, 0
	v_add3_u32 v7, v7, v5, v4
.LBB50_13:
	v_pk_mov_b32 v[4:5], v[6:7], v[6:7] op_sel:[0,1]
.LBB50_14:
	s_cmp_eq_u32 s11, 1
	s_waitcnt vmcnt(0)
	v_subrev_u32_e32 v6, s20, v1
	s_cselect_b64 s[20:21], -1, 0
	s_cmpk_eq_i32 s9, 0x6f
	s_cselect_b64 s[22:23], -1, 0
	s_cmpk_lg_i32 s9, 0x6f
	s_cselect_b64 s[8:9], -1, 0
	s_cmp_lg_u32 s11, 1
	v_ashrrev_i32_e32 v7, 31, v6
	s_cbranch_scc0 .LBB50_18
; %bb.15:
	s_andn2_b64 vcc, exec, s[8:9]
	v_pk_mov_b32 v[8:9], v[6:7], v[6:7] op_sel:[0,1]
	s_cbranch_vccnz .LBB50_17
; %bb.16:
	v_mul_lo_u32 v1, v7, s0
	v_mul_lo_u32 v11, v6, s1
	v_mad_u64_u32 v[8:9], s[8:9], v6, s0, 0
	v_add3_u32 v9, v9, v11, v1
.LBB50_17:
	s_cbranch_execz .LBB50_19
	s_branch .LBB50_22
.LBB50_18:
                                        ; implicit-def: $vgpr8_vgpr9
.LBB50_19:
	s_andn2_b64 vcc, exec, s[22:23]
	s_cbranch_vccnz .LBB50_21
; %bb.20:
	v_mul_lo_u32 v1, v7, s0
	v_mul_lo_u32 v8, v6, s1
	v_mad_u64_u32 v[6:7], s[8:9], v6, s0, 0
	v_add3_u32 v7, v7, v8, v1
.LBB50_21:
	v_pk_mov_b32 v[8:9], v[6:7], v[6:7] op_sel:[0,1]
.LBB50_22:
	s_load_dwordx2 s[8:9], s[4:5], 0x50
	v_and_b32_e32 v6, 7, v0
	v_cmp_gt_i32_e32 vcc, s14, v6
	v_mov_b32_e32 v7, 0
	s_and_saveexec_b64 s[10:11], vcc
	s_cbranch_execz .LBB50_26
; %bb.23:
	s_load_dwordx2 s[24:25], s[4:5], 0x38
	s_load_dwordx2 s[26:27], s[4:5], 0x28
	s_xor_b64 s[4:5], s[18:19], s[16:17]
	v_lshlrev_b64 v[0:1], 1, v[8:9]
	s_and_b64 s[4:5], s[4:5], exec
	s_waitcnt lgkmcnt(0)
	v_mov_b32_e32 v7, s25
	v_add_co_u32_e32 v8, vcc, s24, v0
	s_cselect_b32 s1, 1, s6
	s_xor_b64 s[4:5], s[22:23], s[20:21]
	v_addc_co_u32_e32 v9, vcc, v7, v1, vcc
	v_lshlrev_b64 v[0:1], 1, v[4:5]
	s_and_b64 s[4:5], s[4:5], exec
	v_mov_b32_e32 v4, s27
	v_add_co_u32_e32 v11, vcc, s26, v0
	s_cselect_b32 s0, s0, 1
	v_addc_co_u32_e32 v12, vcc, v4, v1, vcc
	v_mul_lo_u32 v0, s0, v6
	s_lshl_b32 s3, s0, 3
	v_mul_lo_u32 v4, s1, v6
	s_lshl_b32 s4, s1, 3
	s_mov_b64 s[0:1], 0
	v_mov_b32_e32 v7, 0
	v_mov_b32_e32 v13, v6
.LBB50_24:                              ; =>This Inner Loop Header: Depth=1
	v_ashrrev_i32_e32 v5, 31, v4
	v_lshlrev_b64 v[14:15], 1, v[4:5]
	v_add_co_u32_e32 v14, vcc, v11, v14
	v_addc_co_u32_e32 v15, vcc, v12, v15, vcc
	v_ashrrev_i32_e32 v1, 31, v0
	global_load_ushort v5, v[14:15], off
	v_lshlrev_b64 v[14:15], 1, v[0:1]
	v_add_co_u32_e32 v14, vcc, v8, v14
	v_addc_co_u32_e32 v15, vcc, v9, v15, vcc
	global_load_ushort v1, v[14:15], off
	v_add_u32_e32 v13, 8, v13
	v_cmp_le_i32_e32 vcc, s14, v13
	v_add_u32_e32 v0, s3, v0
	s_or_b64 s[0:1], vcc, s[0:1]
	v_add_u32_e32 v4, s4, v4
	s_waitcnt vmcnt(0)
	v_mul_f16_e32 v1, v5, v1
	v_cvt_f32_f16_e32 v1, v1
	v_add_f32_e32 v7, v7, v1
	s_andn2_b64 exec, exec, s[0:1]
	s_cbranch_execnz .LBB50_24
; %bb.25:
	s_or_b64 exec, exec, s[0:1]
.LBB50_26:
	s_or_b64 exec, exec, s[10:11]
	v_lshlrev_b32_e32 v0, 2, v6
	v_lshl_or_b32 v0, v10, 5, v0
	v_cmp_gt_u32_e32 vcc, 4, v6
	ds_write_b32 v0, v7
	s_waitcnt lgkmcnt(0)
	s_barrier
	s_and_saveexec_b64 s[0:1], vcc
	s_cbranch_execz .LBB50_28
; %bb.27:
	ds_read2_b32 v[4:5], v0 offset1:4
	s_waitcnt lgkmcnt(0)
	v_add_f32_e32 v1, v5, v4
	ds_write_b32 v0, v1
.LBB50_28:
	s_or_b64 exec, exec, s[0:1]
	v_cmp_gt_u32_e32 vcc, 2, v6
	s_waitcnt lgkmcnt(0)
	s_barrier
	s_and_saveexec_b64 s[0:1], vcc
	s_cbranch_execz .LBB50_30
; %bb.29:
	ds_read2_b32 v[4:5], v0 offset1:2
	s_waitcnt lgkmcnt(0)
	v_add_f32_e32 v1, v5, v4
	ds_write_b32 v0, v1
.LBB50_30:
	s_or_b64 exec, exec, s[0:1]
	v_cmp_eq_u32_e32 vcc, 0, v6
	v_lshlrev_b32_e32 v1, 5, v10
	s_waitcnt lgkmcnt(0)
	s_barrier
	s_and_saveexec_b64 s[0:1], vcc
	s_cbranch_execz .LBB50_32
; %bb.31:
	ds_read_b32 v4, v1 offset:4
	ds_read_b32 v5, v0
	s_waitcnt lgkmcnt(0)
	v_add_f32_e32 v4, v4, v5
	ds_write_b32 v0, v4
.LBB50_32:
	s_or_b64 exec, exec, s[0:1]
	s_waitcnt lgkmcnt(0)
	s_barrier
	s_and_b64 exec, exec, vcc
	s_cbranch_execz .LBB50_34
; %bb.33:
	v_mov_b32_e32 v0, s9
	v_add_co_u32_e32 v2, vcc, s8, v2
	v_addc_co_u32_e32 v3, vcc, v0, v3, vcc
	global_load_dword v0, v[2:3], off
	ds_read_b32 v1, v1
	s_waitcnt lgkmcnt(0)
	v_mul_f32_e32 v1, s12, v1
	s_waitcnt vmcnt(0)
	v_fmac_f32_e32 v1, s2, v0
	global_store_dword v[2:3], v1, off
.LBB50_34:
	s_endpgm
	.section	.rodata,"a",@progbits
	.p2align	6, 0x0
	.amdhsa_kernel _ZN9rocsparseL17sddmm_coox_kernelILi512ELi8ELb0EfiiDF16_DF16_fEEv20rocsparse_operation_S1_16rocsparse_order_S2_T4_S3_S3_T3_NS_24const_host_device_scalarIT2_EEPKT5_lPKT6_lS7_PT7_PKS4_SH_21rocsparse_index_base_b
		.amdhsa_group_segment_fixed_size 2048
		.amdhsa_private_segment_fixed_size 0
		.amdhsa_kernarg_size 112
		.amdhsa_user_sgpr_count 6
		.amdhsa_user_sgpr_private_segment_buffer 1
		.amdhsa_user_sgpr_dispatch_ptr 0
		.amdhsa_user_sgpr_queue_ptr 0
		.amdhsa_user_sgpr_kernarg_segment_ptr 1
		.amdhsa_user_sgpr_dispatch_id 0
		.amdhsa_user_sgpr_flat_scratch_init 0
		.amdhsa_user_sgpr_kernarg_preload_length 0
		.amdhsa_user_sgpr_kernarg_preload_offset 0
		.amdhsa_user_sgpr_private_segment_size 0
		.amdhsa_uses_dynamic_stack 0
		.amdhsa_system_sgpr_private_segment_wavefront_offset 0
		.amdhsa_system_sgpr_workgroup_id_x 1
		.amdhsa_system_sgpr_workgroup_id_y 0
		.amdhsa_system_sgpr_workgroup_id_z 0
		.amdhsa_system_sgpr_workgroup_info 0
		.amdhsa_system_vgpr_workitem_id 0
		.amdhsa_next_free_vgpr 16
		.amdhsa_next_free_sgpr 28
		.amdhsa_accum_offset 16
		.amdhsa_reserve_vcc 1
		.amdhsa_reserve_flat_scratch 0
		.amdhsa_float_round_mode_32 0
		.amdhsa_float_round_mode_16_64 0
		.amdhsa_float_denorm_mode_32 3
		.amdhsa_float_denorm_mode_16_64 3
		.amdhsa_dx10_clamp 1
		.amdhsa_ieee_mode 1
		.amdhsa_fp16_overflow 0
		.amdhsa_tg_split 0
		.amdhsa_exception_fp_ieee_invalid_op 0
		.amdhsa_exception_fp_denorm_src 0
		.amdhsa_exception_fp_ieee_div_zero 0
		.amdhsa_exception_fp_ieee_overflow 0
		.amdhsa_exception_fp_ieee_underflow 0
		.amdhsa_exception_fp_ieee_inexact 0
		.amdhsa_exception_int_div_zero 0
	.end_amdhsa_kernel
	.section	.text._ZN9rocsparseL17sddmm_coox_kernelILi512ELi8ELb0EfiiDF16_DF16_fEEv20rocsparse_operation_S1_16rocsparse_order_S2_T4_S3_S3_T3_NS_24const_host_device_scalarIT2_EEPKT5_lPKT6_lS7_PT7_PKS4_SH_21rocsparse_index_base_b,"axG",@progbits,_ZN9rocsparseL17sddmm_coox_kernelILi512ELi8ELb0EfiiDF16_DF16_fEEv20rocsparse_operation_S1_16rocsparse_order_S2_T4_S3_S3_T3_NS_24const_host_device_scalarIT2_EEPKT5_lPKT6_lS7_PT7_PKS4_SH_21rocsparse_index_base_b,comdat
.Lfunc_end50:
	.size	_ZN9rocsparseL17sddmm_coox_kernelILi512ELi8ELb0EfiiDF16_DF16_fEEv20rocsparse_operation_S1_16rocsparse_order_S2_T4_S3_S3_T3_NS_24const_host_device_scalarIT2_EEPKT5_lPKT6_lS7_PT7_PKS4_SH_21rocsparse_index_base_b, .Lfunc_end50-_ZN9rocsparseL17sddmm_coox_kernelILi512ELi8ELb0EfiiDF16_DF16_fEEv20rocsparse_operation_S1_16rocsparse_order_S2_T4_S3_S3_T3_NS_24const_host_device_scalarIT2_EEPKT5_lPKT6_lS7_PT7_PKS4_SH_21rocsparse_index_base_b
                                        ; -- End function
	.section	.AMDGPU.csdata,"",@progbits
; Kernel info:
; codeLenInByte = 1024
; NumSgprs: 32
; NumVgprs: 16
; NumAgprs: 0
; TotalNumVgprs: 16
; ScratchSize: 0
; MemoryBound: 0
; FloatMode: 240
; IeeeMode: 1
; LDSByteSize: 2048 bytes/workgroup (compile time only)
; SGPRBlocks: 3
; VGPRBlocks: 1
; NumSGPRsForWavesPerEU: 32
; NumVGPRsForWavesPerEU: 16
; AccumOffset: 16
; Occupancy: 8
; WaveLimiterHint : 0
; COMPUTE_PGM_RSRC2:SCRATCH_EN: 0
; COMPUTE_PGM_RSRC2:USER_SGPR: 6
; COMPUTE_PGM_RSRC2:TRAP_HANDLER: 0
; COMPUTE_PGM_RSRC2:TGID_X_EN: 1
; COMPUTE_PGM_RSRC2:TGID_Y_EN: 0
; COMPUTE_PGM_RSRC2:TGID_Z_EN: 0
; COMPUTE_PGM_RSRC2:TIDIG_COMP_CNT: 0
; COMPUTE_PGM_RSRC3_GFX90A:ACCUM_OFFSET: 3
; COMPUTE_PGM_RSRC3_GFX90A:TG_SPLIT: 0
	.section	.text._ZN9rocsparseL17sddmm_coox_kernelILi512ELi4ELb0EfiiDF16_DF16_fEEv20rocsparse_operation_S1_16rocsparse_order_S2_T4_S3_S3_T3_NS_24const_host_device_scalarIT2_EEPKT5_lPKT6_lS7_PT7_PKS4_SH_21rocsparse_index_base_b,"axG",@progbits,_ZN9rocsparseL17sddmm_coox_kernelILi512ELi4ELb0EfiiDF16_DF16_fEEv20rocsparse_operation_S1_16rocsparse_order_S2_T4_S3_S3_T3_NS_24const_host_device_scalarIT2_EEPKT5_lPKT6_lS7_PT7_PKS4_SH_21rocsparse_index_base_b,comdat
	.globl	_ZN9rocsparseL17sddmm_coox_kernelILi512ELi4ELb0EfiiDF16_DF16_fEEv20rocsparse_operation_S1_16rocsparse_order_S2_T4_S3_S3_T3_NS_24const_host_device_scalarIT2_EEPKT5_lPKT6_lS7_PT7_PKS4_SH_21rocsparse_index_base_b ; -- Begin function _ZN9rocsparseL17sddmm_coox_kernelILi512ELi4ELb0EfiiDF16_DF16_fEEv20rocsparse_operation_S1_16rocsparse_order_S2_T4_S3_S3_T3_NS_24const_host_device_scalarIT2_EEPKT5_lPKT6_lS7_PT7_PKS4_SH_21rocsparse_index_base_b
	.p2align	8
	.type	_ZN9rocsparseL17sddmm_coox_kernelILi512ELi4ELb0EfiiDF16_DF16_fEEv20rocsparse_operation_S1_16rocsparse_order_S2_T4_S3_S3_T3_NS_24const_host_device_scalarIT2_EEPKT5_lPKT6_lS7_PT7_PKS4_SH_21rocsparse_index_base_b,@function
_ZN9rocsparseL17sddmm_coox_kernelILi512ELi4ELb0EfiiDF16_DF16_fEEv20rocsparse_operation_S1_16rocsparse_order_S2_T4_S3_S3_T3_NS_24const_host_device_scalarIT2_EEPKT5_lPKT6_lS7_PT7_PKS4_SH_21rocsparse_index_base_b: ; @_ZN9rocsparseL17sddmm_coox_kernelILi512ELi4ELb0EfiiDF16_DF16_fEEv20rocsparse_operation_S1_16rocsparse_order_S2_T4_S3_S3_T3_NS_24const_host_device_scalarIT2_EEPKT5_lPKT6_lS7_PT7_PKS4_SH_21rocsparse_index_base_b
; %bb.0:
	s_load_dwordx2 s[20:21], s[4:5], 0x68
	s_load_dwordx2 s[12:13], s[4:5], 0x20
	s_load_dwordx4 s[0:3], s[4:5], 0x40
	s_waitcnt lgkmcnt(0)
	s_bitcmp1_b32 s21, 0
	s_cselect_b64 s[10:11], -1, 0
	s_xor_b64 s[8:9], s[10:11], -1
	s_and_b64 vcc, exec, s[10:11]
	s_cbranch_vccnz .LBB51_2
; %bb.1:
	s_load_dword s12, s[12:13], 0x0
.LBB51_2:
	s_andn2_b64 vcc, exec, s[8:9]
	s_cbranch_vccnz .LBB51_4
; %bb.3:
	s_load_dword s2, s[2:3], 0x0
.LBB51_4:
	s_waitcnt lgkmcnt(0)
	v_cmp_eq_f32_e64 s[8:9], s12, 0
	v_cmp_eq_f32_e64 s[10:11], s2, 1.0
	s_and_b64 s[8:9], s[8:9], s[10:11]
	s_and_b64 vcc, exec, s[8:9]
	s_cbranch_vccnz .LBB51_32
; %bb.5:
	s_load_dwordx2 s[14:15], s[4:5], 0x18
	v_lshrrev_b32_e32 v10, 2, v0
	v_lshl_or_b32 v2, s6, 7, v10
	s_waitcnt lgkmcnt(0)
	v_cmp_gt_i32_e32 vcc, s15, v2
	s_and_saveexec_b64 s[6:7], vcc
	s_cbranch_execz .LBB51_32
; %bb.6:
	s_load_dwordx4 s[8:11], s[4:5], 0x58
	v_ashrrev_i32_e32 v3, 31, v2
	v_lshlrev_b64 v[2:3], 2, v[2:3]
	s_waitcnt lgkmcnt(0)
	v_mov_b32_e32 v1, s9
	v_add_co_u32_e32 v4, vcc, s8, v2
	v_addc_co_u32_e32 v5, vcc, v1, v3, vcc
	global_load_dword v6, v[4:5], off
	v_mov_b32_e32 v1, s11
	v_add_co_u32_e32 v4, vcc, s10, v2
	v_addc_co_u32_e32 v5, vcc, v1, v3, vcc
	global_load_dword v1, v[4:5], off
	s_load_dwordx4 s[8:11], s[4:5], 0x0
	s_load_dwordx2 s[6:7], s[4:5], 0x30
	s_waitcnt lgkmcnt(0)
	s_cmp_eq_u32 s10, 1
	s_cselect_b64 s[16:17], -1, 0
	s_cmpk_eq_i32 s8, 0x6f
	s_cselect_b64 s[18:19], -1, 0
	s_cmpk_lg_i32 s8, 0x6f
	s_cselect_b64 s[22:23], -1, 0
	s_cmp_lg_u32 s10, 1
	s_waitcnt vmcnt(1)
	v_subrev_u32_e32 v6, s20, v6
	v_ashrrev_i32_e32 v7, 31, v6
	s_cbranch_scc0 .LBB51_10
; %bb.7:
	s_andn2_b64 vcc, exec, s[18:19]
	v_pk_mov_b32 v[4:5], v[6:7], v[6:7] op_sel:[0,1]
	s_cbranch_vccnz .LBB51_9
; %bb.8:
	v_mul_lo_u32 v8, v7, s6
	v_mul_lo_u32 v9, v6, s7
	v_mad_u64_u32 v[4:5], s[24:25], v6, s6, 0
	v_add3_u32 v5, v5, v9, v8
.LBB51_9:
	s_cbranch_execz .LBB51_11
	s_branch .LBB51_14
.LBB51_10:
                                        ; implicit-def: $vgpr4_vgpr5
.LBB51_11:
	s_andn2_b64 vcc, exec, s[22:23]
	s_cbranch_vccnz .LBB51_13
; %bb.12:
	v_mul_lo_u32 v4, v7, s6
	v_mul_lo_u32 v5, v6, s7
	v_mad_u64_u32 v[6:7], s[22:23], v6, s6, 0
	v_add3_u32 v7, v7, v5, v4
.LBB51_13:
	v_pk_mov_b32 v[4:5], v[6:7], v[6:7] op_sel:[0,1]
.LBB51_14:
	s_cmp_eq_u32 s11, 1
	s_waitcnt vmcnt(0)
	v_subrev_u32_e32 v6, s20, v1
	s_cselect_b64 s[20:21], -1, 0
	s_cmpk_eq_i32 s9, 0x6f
	s_cselect_b64 s[22:23], -1, 0
	s_cmpk_lg_i32 s9, 0x6f
	s_cselect_b64 s[8:9], -1, 0
	s_cmp_lg_u32 s11, 1
	v_ashrrev_i32_e32 v7, 31, v6
	s_cbranch_scc0 .LBB51_18
; %bb.15:
	s_andn2_b64 vcc, exec, s[8:9]
	v_pk_mov_b32 v[8:9], v[6:7], v[6:7] op_sel:[0,1]
	s_cbranch_vccnz .LBB51_17
; %bb.16:
	v_mul_lo_u32 v1, v7, s0
	v_mul_lo_u32 v11, v6, s1
	v_mad_u64_u32 v[8:9], s[8:9], v6, s0, 0
	v_add3_u32 v9, v9, v11, v1
.LBB51_17:
	s_cbranch_execz .LBB51_19
	s_branch .LBB51_22
.LBB51_18:
                                        ; implicit-def: $vgpr8_vgpr9
.LBB51_19:
	s_andn2_b64 vcc, exec, s[22:23]
	s_cbranch_vccnz .LBB51_21
; %bb.20:
	v_mul_lo_u32 v1, v7, s0
	v_mul_lo_u32 v8, v6, s1
	v_mad_u64_u32 v[6:7], s[8:9], v6, s0, 0
	v_add3_u32 v7, v7, v8, v1
.LBB51_21:
	v_pk_mov_b32 v[8:9], v[6:7], v[6:7] op_sel:[0,1]
.LBB51_22:
	s_load_dwordx2 s[8:9], s[4:5], 0x50
	v_and_b32_e32 v6, 3, v0
	v_cmp_gt_i32_e32 vcc, s14, v6
	v_mov_b32_e32 v7, 0
	s_and_saveexec_b64 s[10:11], vcc
	s_cbranch_execz .LBB51_26
; %bb.23:
	s_load_dwordx2 s[24:25], s[4:5], 0x38
	s_load_dwordx2 s[26:27], s[4:5], 0x28
	s_xor_b64 s[4:5], s[18:19], s[16:17]
	v_lshlrev_b64 v[0:1], 1, v[8:9]
	s_and_b64 s[4:5], s[4:5], exec
	s_waitcnt lgkmcnt(0)
	v_mov_b32_e32 v7, s25
	v_add_co_u32_e32 v8, vcc, s24, v0
	s_cselect_b32 s1, 1, s6
	s_xor_b64 s[4:5], s[22:23], s[20:21]
	v_addc_co_u32_e32 v9, vcc, v7, v1, vcc
	v_lshlrev_b64 v[0:1], 1, v[4:5]
	s_and_b64 s[4:5], s[4:5], exec
	v_mov_b32_e32 v4, s27
	v_add_co_u32_e32 v11, vcc, s26, v0
	s_cselect_b32 s0, s0, 1
	v_addc_co_u32_e32 v12, vcc, v4, v1, vcc
	v_mul_lo_u32 v0, s0, v6
	s_lshl_b32 s3, s0, 2
	v_mul_lo_u32 v4, s1, v6
	s_lshl_b32 s4, s1, 2
	s_mov_b64 s[0:1], 0
	v_mov_b32_e32 v7, 0
	v_mov_b32_e32 v13, v6
.LBB51_24:                              ; =>This Inner Loop Header: Depth=1
	v_ashrrev_i32_e32 v5, 31, v4
	v_lshlrev_b64 v[14:15], 1, v[4:5]
	v_add_co_u32_e32 v14, vcc, v11, v14
	v_addc_co_u32_e32 v15, vcc, v12, v15, vcc
	v_ashrrev_i32_e32 v1, 31, v0
	global_load_ushort v5, v[14:15], off
	v_lshlrev_b64 v[14:15], 1, v[0:1]
	v_add_co_u32_e32 v14, vcc, v8, v14
	v_addc_co_u32_e32 v15, vcc, v9, v15, vcc
	global_load_ushort v1, v[14:15], off
	v_add_u32_e32 v13, 4, v13
	v_cmp_le_i32_e32 vcc, s14, v13
	v_add_u32_e32 v0, s3, v0
	s_or_b64 s[0:1], vcc, s[0:1]
	v_add_u32_e32 v4, s4, v4
	s_waitcnt vmcnt(0)
	v_mul_f16_e32 v1, v5, v1
	v_cvt_f32_f16_e32 v1, v1
	v_add_f32_e32 v7, v7, v1
	s_andn2_b64 exec, exec, s[0:1]
	s_cbranch_execnz .LBB51_24
; %bb.25:
	s_or_b64 exec, exec, s[0:1]
.LBB51_26:
	s_or_b64 exec, exec, s[10:11]
	v_lshlrev_b32_e32 v0, 2, v6
	v_lshl_or_b32 v0, v10, 4, v0
	v_cmp_gt_u32_e32 vcc, 2, v6
	ds_write_b32 v0, v7
	s_waitcnt lgkmcnt(0)
	s_barrier
	s_and_saveexec_b64 s[0:1], vcc
	s_cbranch_execz .LBB51_28
; %bb.27:
	ds_read2_b32 v[4:5], v0 offset1:2
	s_waitcnt lgkmcnt(0)
	v_add_f32_e32 v1, v5, v4
	ds_write_b32 v0, v1
.LBB51_28:
	s_or_b64 exec, exec, s[0:1]
	v_cmp_eq_u32_e32 vcc, 0, v6
	v_lshlrev_b32_e32 v1, 4, v10
	s_waitcnt lgkmcnt(0)
	s_barrier
	s_and_saveexec_b64 s[0:1], vcc
	s_cbranch_execz .LBB51_30
; %bb.29:
	ds_read_b32 v4, v1 offset:4
	ds_read_b32 v5, v0
	s_waitcnt lgkmcnt(0)
	v_add_f32_e32 v4, v4, v5
	ds_write_b32 v0, v4
.LBB51_30:
	s_or_b64 exec, exec, s[0:1]
	s_waitcnt lgkmcnt(0)
	s_barrier
	s_and_b64 exec, exec, vcc
	s_cbranch_execz .LBB51_32
; %bb.31:
	v_mov_b32_e32 v0, s9
	v_add_co_u32_e32 v2, vcc, s8, v2
	v_addc_co_u32_e32 v3, vcc, v0, v3, vcc
	global_load_dword v0, v[2:3], off
	ds_read_b32 v1, v1
	s_waitcnt lgkmcnt(0)
	v_mul_f32_e32 v1, s12, v1
	s_waitcnt vmcnt(0)
	v_fmac_f32_e32 v1, s2, v0
	global_store_dword v[2:3], v1, off
.LBB51_32:
	s_endpgm
	.section	.rodata,"a",@progbits
	.p2align	6, 0x0
	.amdhsa_kernel _ZN9rocsparseL17sddmm_coox_kernelILi512ELi4ELb0EfiiDF16_DF16_fEEv20rocsparse_operation_S1_16rocsparse_order_S2_T4_S3_S3_T3_NS_24const_host_device_scalarIT2_EEPKT5_lPKT6_lS7_PT7_PKS4_SH_21rocsparse_index_base_b
		.amdhsa_group_segment_fixed_size 2048
		.amdhsa_private_segment_fixed_size 0
		.amdhsa_kernarg_size 112
		.amdhsa_user_sgpr_count 6
		.amdhsa_user_sgpr_private_segment_buffer 1
		.amdhsa_user_sgpr_dispatch_ptr 0
		.amdhsa_user_sgpr_queue_ptr 0
		.amdhsa_user_sgpr_kernarg_segment_ptr 1
		.amdhsa_user_sgpr_dispatch_id 0
		.amdhsa_user_sgpr_flat_scratch_init 0
		.amdhsa_user_sgpr_kernarg_preload_length 0
		.amdhsa_user_sgpr_kernarg_preload_offset 0
		.amdhsa_user_sgpr_private_segment_size 0
		.amdhsa_uses_dynamic_stack 0
		.amdhsa_system_sgpr_private_segment_wavefront_offset 0
		.amdhsa_system_sgpr_workgroup_id_x 1
		.amdhsa_system_sgpr_workgroup_id_y 0
		.amdhsa_system_sgpr_workgroup_id_z 0
		.amdhsa_system_sgpr_workgroup_info 0
		.amdhsa_system_vgpr_workitem_id 0
		.amdhsa_next_free_vgpr 16
		.amdhsa_next_free_sgpr 28
		.amdhsa_accum_offset 16
		.amdhsa_reserve_vcc 1
		.amdhsa_reserve_flat_scratch 0
		.amdhsa_float_round_mode_32 0
		.amdhsa_float_round_mode_16_64 0
		.amdhsa_float_denorm_mode_32 3
		.amdhsa_float_denorm_mode_16_64 3
		.amdhsa_dx10_clamp 1
		.amdhsa_ieee_mode 1
		.amdhsa_fp16_overflow 0
		.amdhsa_tg_split 0
		.amdhsa_exception_fp_ieee_invalid_op 0
		.amdhsa_exception_fp_denorm_src 0
		.amdhsa_exception_fp_ieee_div_zero 0
		.amdhsa_exception_fp_ieee_overflow 0
		.amdhsa_exception_fp_ieee_underflow 0
		.amdhsa_exception_fp_ieee_inexact 0
		.amdhsa_exception_int_div_zero 0
	.end_amdhsa_kernel
	.section	.text._ZN9rocsparseL17sddmm_coox_kernelILi512ELi4ELb0EfiiDF16_DF16_fEEv20rocsparse_operation_S1_16rocsparse_order_S2_T4_S3_S3_T3_NS_24const_host_device_scalarIT2_EEPKT5_lPKT6_lS7_PT7_PKS4_SH_21rocsparse_index_base_b,"axG",@progbits,_ZN9rocsparseL17sddmm_coox_kernelILi512ELi4ELb0EfiiDF16_DF16_fEEv20rocsparse_operation_S1_16rocsparse_order_S2_T4_S3_S3_T3_NS_24const_host_device_scalarIT2_EEPKT5_lPKT6_lS7_PT7_PKS4_SH_21rocsparse_index_base_b,comdat
.Lfunc_end51:
	.size	_ZN9rocsparseL17sddmm_coox_kernelILi512ELi4ELb0EfiiDF16_DF16_fEEv20rocsparse_operation_S1_16rocsparse_order_S2_T4_S3_S3_T3_NS_24const_host_device_scalarIT2_EEPKT5_lPKT6_lS7_PT7_PKS4_SH_21rocsparse_index_base_b, .Lfunc_end51-_ZN9rocsparseL17sddmm_coox_kernelILi512ELi4ELb0EfiiDF16_DF16_fEEv20rocsparse_operation_S1_16rocsparse_order_S2_T4_S3_S3_T3_NS_24const_host_device_scalarIT2_EEPKT5_lPKT6_lS7_PT7_PKS4_SH_21rocsparse_index_base_b
                                        ; -- End function
	.section	.AMDGPU.csdata,"",@progbits
; Kernel info:
; codeLenInByte = 976
; NumSgprs: 32
; NumVgprs: 16
; NumAgprs: 0
; TotalNumVgprs: 16
; ScratchSize: 0
; MemoryBound: 0
; FloatMode: 240
; IeeeMode: 1
; LDSByteSize: 2048 bytes/workgroup (compile time only)
; SGPRBlocks: 3
; VGPRBlocks: 1
; NumSGPRsForWavesPerEU: 32
; NumVGPRsForWavesPerEU: 16
; AccumOffset: 16
; Occupancy: 8
; WaveLimiterHint : 0
; COMPUTE_PGM_RSRC2:SCRATCH_EN: 0
; COMPUTE_PGM_RSRC2:USER_SGPR: 6
; COMPUTE_PGM_RSRC2:TRAP_HANDLER: 0
; COMPUTE_PGM_RSRC2:TGID_X_EN: 1
; COMPUTE_PGM_RSRC2:TGID_Y_EN: 0
; COMPUTE_PGM_RSRC2:TGID_Z_EN: 0
; COMPUTE_PGM_RSRC2:TIDIG_COMP_CNT: 0
; COMPUTE_PGM_RSRC3_GFX90A:ACCUM_OFFSET: 3
; COMPUTE_PGM_RSRC3_GFX90A:TG_SPLIT: 0
	.section	.text._ZN9rocsparseL17sddmm_coox_kernelILi512ELi2ELb0EfiiDF16_DF16_fEEv20rocsparse_operation_S1_16rocsparse_order_S2_T4_S3_S3_T3_NS_24const_host_device_scalarIT2_EEPKT5_lPKT6_lS7_PT7_PKS4_SH_21rocsparse_index_base_b,"axG",@progbits,_ZN9rocsparseL17sddmm_coox_kernelILi512ELi2ELb0EfiiDF16_DF16_fEEv20rocsparse_operation_S1_16rocsparse_order_S2_T4_S3_S3_T3_NS_24const_host_device_scalarIT2_EEPKT5_lPKT6_lS7_PT7_PKS4_SH_21rocsparse_index_base_b,comdat
	.globl	_ZN9rocsparseL17sddmm_coox_kernelILi512ELi2ELb0EfiiDF16_DF16_fEEv20rocsparse_operation_S1_16rocsparse_order_S2_T4_S3_S3_T3_NS_24const_host_device_scalarIT2_EEPKT5_lPKT6_lS7_PT7_PKS4_SH_21rocsparse_index_base_b ; -- Begin function _ZN9rocsparseL17sddmm_coox_kernelILi512ELi2ELb0EfiiDF16_DF16_fEEv20rocsparse_operation_S1_16rocsparse_order_S2_T4_S3_S3_T3_NS_24const_host_device_scalarIT2_EEPKT5_lPKT6_lS7_PT7_PKS4_SH_21rocsparse_index_base_b
	.p2align	8
	.type	_ZN9rocsparseL17sddmm_coox_kernelILi512ELi2ELb0EfiiDF16_DF16_fEEv20rocsparse_operation_S1_16rocsparse_order_S2_T4_S3_S3_T3_NS_24const_host_device_scalarIT2_EEPKT5_lPKT6_lS7_PT7_PKS4_SH_21rocsparse_index_base_b,@function
_ZN9rocsparseL17sddmm_coox_kernelILi512ELi2ELb0EfiiDF16_DF16_fEEv20rocsparse_operation_S1_16rocsparse_order_S2_T4_S3_S3_T3_NS_24const_host_device_scalarIT2_EEPKT5_lPKT6_lS7_PT7_PKS4_SH_21rocsparse_index_base_b: ; @_ZN9rocsparseL17sddmm_coox_kernelILi512ELi2ELb0EfiiDF16_DF16_fEEv20rocsparse_operation_S1_16rocsparse_order_S2_T4_S3_S3_T3_NS_24const_host_device_scalarIT2_EEPKT5_lPKT6_lS7_PT7_PKS4_SH_21rocsparse_index_base_b
; %bb.0:
	s_load_dwordx2 s[20:21], s[4:5], 0x68
	s_load_dwordx2 s[12:13], s[4:5], 0x20
	s_load_dwordx4 s[0:3], s[4:5], 0x40
	s_waitcnt lgkmcnt(0)
	s_bitcmp1_b32 s21, 0
	s_cselect_b64 s[10:11], -1, 0
	s_xor_b64 s[8:9], s[10:11], -1
	s_and_b64 vcc, exec, s[10:11]
	s_cbranch_vccnz .LBB52_2
; %bb.1:
	s_load_dword s12, s[12:13], 0x0
.LBB52_2:
	s_andn2_b64 vcc, exec, s[8:9]
	s_cbranch_vccnz .LBB52_4
; %bb.3:
	s_load_dword s2, s[2:3], 0x0
.LBB52_4:
	s_waitcnt lgkmcnt(0)
	v_cmp_eq_f32_e64 s[8:9], s12, 0
	v_cmp_eq_f32_e64 s[10:11], s2, 1.0
	s_and_b64 s[8:9], s[8:9], s[10:11]
	s_and_b64 vcc, exec, s[8:9]
	s_cbranch_vccnz .LBB52_30
; %bb.5:
	s_load_dwordx2 s[14:15], s[4:5], 0x18
	v_lshrrev_b32_e32 v10, 1, v0
	v_lshl_or_b32 v2, s6, 8, v10
	s_waitcnt lgkmcnt(0)
	v_cmp_gt_i32_e32 vcc, s15, v2
	s_and_saveexec_b64 s[6:7], vcc
	s_cbranch_execz .LBB52_30
; %bb.6:
	s_load_dwordx4 s[8:11], s[4:5], 0x58
	v_ashrrev_i32_e32 v3, 31, v2
	v_lshlrev_b64 v[2:3], 2, v[2:3]
	s_waitcnt lgkmcnt(0)
	v_mov_b32_e32 v1, s9
	v_add_co_u32_e32 v4, vcc, s8, v2
	v_addc_co_u32_e32 v5, vcc, v1, v3, vcc
	global_load_dword v6, v[4:5], off
	v_mov_b32_e32 v1, s11
	v_add_co_u32_e32 v4, vcc, s10, v2
	v_addc_co_u32_e32 v5, vcc, v1, v3, vcc
	global_load_dword v1, v[4:5], off
	s_load_dwordx4 s[8:11], s[4:5], 0x0
	s_load_dwordx2 s[6:7], s[4:5], 0x30
	s_waitcnt lgkmcnt(0)
	s_cmp_eq_u32 s10, 1
	s_cselect_b64 s[16:17], -1, 0
	s_cmpk_eq_i32 s8, 0x6f
	s_cselect_b64 s[18:19], -1, 0
	s_cmpk_lg_i32 s8, 0x6f
	s_cselect_b64 s[22:23], -1, 0
	s_cmp_lg_u32 s10, 1
	s_waitcnt vmcnt(1)
	v_subrev_u32_e32 v6, s20, v6
	v_ashrrev_i32_e32 v7, 31, v6
	s_cbranch_scc0 .LBB52_10
; %bb.7:
	s_andn2_b64 vcc, exec, s[18:19]
	v_pk_mov_b32 v[4:5], v[6:7], v[6:7] op_sel:[0,1]
	s_cbranch_vccnz .LBB52_9
; %bb.8:
	v_mul_lo_u32 v8, v7, s6
	v_mul_lo_u32 v9, v6, s7
	v_mad_u64_u32 v[4:5], s[24:25], v6, s6, 0
	v_add3_u32 v5, v5, v9, v8
.LBB52_9:
	s_cbranch_execz .LBB52_11
	s_branch .LBB52_14
.LBB52_10:
                                        ; implicit-def: $vgpr4_vgpr5
.LBB52_11:
	s_andn2_b64 vcc, exec, s[22:23]
	s_cbranch_vccnz .LBB52_13
; %bb.12:
	v_mul_lo_u32 v4, v7, s6
	v_mul_lo_u32 v5, v6, s7
	v_mad_u64_u32 v[6:7], s[22:23], v6, s6, 0
	v_add3_u32 v7, v7, v5, v4
.LBB52_13:
	v_pk_mov_b32 v[4:5], v[6:7], v[6:7] op_sel:[0,1]
.LBB52_14:
	s_cmp_eq_u32 s11, 1
	s_waitcnt vmcnt(0)
	v_subrev_u32_e32 v6, s20, v1
	s_cselect_b64 s[20:21], -1, 0
	s_cmpk_eq_i32 s9, 0x6f
	s_cselect_b64 s[22:23], -1, 0
	s_cmpk_lg_i32 s9, 0x6f
	s_cselect_b64 s[8:9], -1, 0
	s_cmp_lg_u32 s11, 1
	v_ashrrev_i32_e32 v7, 31, v6
	s_cbranch_scc0 .LBB52_18
; %bb.15:
	s_andn2_b64 vcc, exec, s[8:9]
	v_pk_mov_b32 v[8:9], v[6:7], v[6:7] op_sel:[0,1]
	s_cbranch_vccnz .LBB52_17
; %bb.16:
	v_mul_lo_u32 v1, v7, s0
	v_mul_lo_u32 v11, v6, s1
	v_mad_u64_u32 v[8:9], s[8:9], v6, s0, 0
	v_add3_u32 v9, v9, v11, v1
.LBB52_17:
	s_cbranch_execz .LBB52_19
	s_branch .LBB52_22
.LBB52_18:
                                        ; implicit-def: $vgpr8_vgpr9
.LBB52_19:
	s_andn2_b64 vcc, exec, s[22:23]
	s_cbranch_vccnz .LBB52_21
; %bb.20:
	v_mul_lo_u32 v1, v7, s0
	v_mul_lo_u32 v8, v6, s1
	v_mad_u64_u32 v[6:7], s[8:9], v6, s0, 0
	v_add3_u32 v7, v7, v8, v1
.LBB52_21:
	v_pk_mov_b32 v[8:9], v[6:7], v[6:7] op_sel:[0,1]
.LBB52_22:
	s_load_dwordx2 s[8:9], s[4:5], 0x50
	v_and_b32_e32 v6, 1, v0
	v_cmp_gt_i32_e32 vcc, s14, v6
	v_mov_b32_e32 v7, 0
	s_and_saveexec_b64 s[10:11], vcc
	s_cbranch_execz .LBB52_26
; %bb.23:
	s_load_dwordx2 s[24:25], s[4:5], 0x38
	s_load_dwordx2 s[26:27], s[4:5], 0x28
	s_xor_b64 s[4:5], s[18:19], s[16:17]
	v_lshlrev_b64 v[0:1], 1, v[8:9]
	s_and_b64 s[4:5], s[4:5], exec
	s_waitcnt lgkmcnt(0)
	v_mov_b32_e32 v7, s25
	v_add_co_u32_e32 v8, vcc, s24, v0
	s_cselect_b32 s1, 1, s6
	s_xor_b64 s[4:5], s[22:23], s[20:21]
	v_addc_co_u32_e32 v9, vcc, v7, v1, vcc
	v_lshlrev_b64 v[0:1], 1, v[4:5]
	s_and_b64 s[4:5], s[4:5], exec
	v_mov_b32_e32 v4, s27
	v_add_co_u32_e32 v11, vcc, s26, v0
	s_cselect_b32 s0, s0, 1
	v_addc_co_u32_e32 v12, vcc, v4, v1, vcc
	v_mul_lo_u32 v0, s0, v6
	s_lshl_b32 s3, s0, 1
	v_mul_lo_u32 v4, s1, v6
	s_lshl_b32 s4, s1, 1
	s_mov_b64 s[0:1], 0
	v_mov_b32_e32 v7, 0
	v_mov_b32_e32 v13, v6
.LBB52_24:                              ; =>This Inner Loop Header: Depth=1
	v_ashrrev_i32_e32 v5, 31, v4
	v_lshlrev_b64 v[14:15], 1, v[4:5]
	v_add_co_u32_e32 v14, vcc, v11, v14
	v_addc_co_u32_e32 v15, vcc, v12, v15, vcc
	v_ashrrev_i32_e32 v1, 31, v0
	global_load_ushort v5, v[14:15], off
	v_lshlrev_b64 v[14:15], 1, v[0:1]
	v_add_co_u32_e32 v14, vcc, v8, v14
	v_addc_co_u32_e32 v15, vcc, v9, v15, vcc
	global_load_ushort v1, v[14:15], off
	v_add_u32_e32 v13, 2, v13
	v_cmp_le_i32_e32 vcc, s14, v13
	v_add_u32_e32 v0, s3, v0
	s_or_b64 s[0:1], vcc, s[0:1]
	v_add_u32_e32 v4, s4, v4
	s_waitcnt vmcnt(0)
	v_mul_f16_e32 v1, v5, v1
	v_cvt_f32_f16_e32 v1, v1
	v_add_f32_e32 v7, v7, v1
	s_andn2_b64 exec, exec, s[0:1]
	s_cbranch_execnz .LBB52_24
; %bb.25:
	s_or_b64 exec, exec, s[0:1]
.LBB52_26:
	s_or_b64 exec, exec, s[10:11]
	v_lshlrev_b32_e32 v0, 3, v10
	v_lshl_or_b32 v1, v6, 2, v0
	v_cmp_eq_u32_e32 vcc, 0, v6
	ds_write_b32 v1, v7
	s_waitcnt lgkmcnt(0)
	s_barrier
	s_and_saveexec_b64 s[0:1], vcc
	s_cbranch_execz .LBB52_28
; %bb.27:
	ds_read_b32 v4, v0 offset:4
	ds_read_b32 v5, v1
	s_waitcnt lgkmcnt(0)
	v_add_f32_e32 v4, v4, v5
	ds_write_b32 v1, v4
.LBB52_28:
	s_or_b64 exec, exec, s[0:1]
	s_waitcnt lgkmcnt(0)
	s_barrier
	s_and_b64 exec, exec, vcc
	s_cbranch_execz .LBB52_30
; %bb.29:
	v_mov_b32_e32 v1, s9
	v_add_co_u32_e32 v2, vcc, s8, v2
	v_addc_co_u32_e32 v3, vcc, v1, v3, vcc
	global_load_dword v1, v[2:3], off
	ds_read_b32 v0, v0
	s_waitcnt lgkmcnt(0)
	v_mul_f32_e32 v0, s12, v0
	s_waitcnt vmcnt(0)
	v_fmac_f32_e32 v0, s2, v1
	global_store_dword v[2:3], v0, off
.LBB52_30:
	s_endpgm
	.section	.rodata,"a",@progbits
	.p2align	6, 0x0
	.amdhsa_kernel _ZN9rocsparseL17sddmm_coox_kernelILi512ELi2ELb0EfiiDF16_DF16_fEEv20rocsparse_operation_S1_16rocsparse_order_S2_T4_S3_S3_T3_NS_24const_host_device_scalarIT2_EEPKT5_lPKT6_lS7_PT7_PKS4_SH_21rocsparse_index_base_b
		.amdhsa_group_segment_fixed_size 2048
		.amdhsa_private_segment_fixed_size 0
		.amdhsa_kernarg_size 112
		.amdhsa_user_sgpr_count 6
		.amdhsa_user_sgpr_private_segment_buffer 1
		.amdhsa_user_sgpr_dispatch_ptr 0
		.amdhsa_user_sgpr_queue_ptr 0
		.amdhsa_user_sgpr_kernarg_segment_ptr 1
		.amdhsa_user_sgpr_dispatch_id 0
		.amdhsa_user_sgpr_flat_scratch_init 0
		.amdhsa_user_sgpr_kernarg_preload_length 0
		.amdhsa_user_sgpr_kernarg_preload_offset 0
		.amdhsa_user_sgpr_private_segment_size 0
		.amdhsa_uses_dynamic_stack 0
		.amdhsa_system_sgpr_private_segment_wavefront_offset 0
		.amdhsa_system_sgpr_workgroup_id_x 1
		.amdhsa_system_sgpr_workgroup_id_y 0
		.amdhsa_system_sgpr_workgroup_id_z 0
		.amdhsa_system_sgpr_workgroup_info 0
		.amdhsa_system_vgpr_workitem_id 0
		.amdhsa_next_free_vgpr 16
		.amdhsa_next_free_sgpr 28
		.amdhsa_accum_offset 16
		.amdhsa_reserve_vcc 1
		.amdhsa_reserve_flat_scratch 0
		.amdhsa_float_round_mode_32 0
		.amdhsa_float_round_mode_16_64 0
		.amdhsa_float_denorm_mode_32 3
		.amdhsa_float_denorm_mode_16_64 3
		.amdhsa_dx10_clamp 1
		.amdhsa_ieee_mode 1
		.amdhsa_fp16_overflow 0
		.amdhsa_tg_split 0
		.amdhsa_exception_fp_ieee_invalid_op 0
		.amdhsa_exception_fp_denorm_src 0
		.amdhsa_exception_fp_ieee_div_zero 0
		.amdhsa_exception_fp_ieee_overflow 0
		.amdhsa_exception_fp_ieee_underflow 0
		.amdhsa_exception_fp_ieee_inexact 0
		.amdhsa_exception_int_div_zero 0
	.end_amdhsa_kernel
	.section	.text._ZN9rocsparseL17sddmm_coox_kernelILi512ELi2ELb0EfiiDF16_DF16_fEEv20rocsparse_operation_S1_16rocsparse_order_S2_T4_S3_S3_T3_NS_24const_host_device_scalarIT2_EEPKT5_lPKT6_lS7_PT7_PKS4_SH_21rocsparse_index_base_b,"axG",@progbits,_ZN9rocsparseL17sddmm_coox_kernelILi512ELi2ELb0EfiiDF16_DF16_fEEv20rocsparse_operation_S1_16rocsparse_order_S2_T4_S3_S3_T3_NS_24const_host_device_scalarIT2_EEPKT5_lPKT6_lS7_PT7_PKS4_SH_21rocsparse_index_base_b,comdat
.Lfunc_end52:
	.size	_ZN9rocsparseL17sddmm_coox_kernelILi512ELi2ELb0EfiiDF16_DF16_fEEv20rocsparse_operation_S1_16rocsparse_order_S2_T4_S3_S3_T3_NS_24const_host_device_scalarIT2_EEPKT5_lPKT6_lS7_PT7_PKS4_SH_21rocsparse_index_base_b, .Lfunc_end52-_ZN9rocsparseL17sddmm_coox_kernelILi512ELi2ELb0EfiiDF16_DF16_fEEv20rocsparse_operation_S1_16rocsparse_order_S2_T4_S3_S3_T3_NS_24const_host_device_scalarIT2_EEPKT5_lPKT6_lS7_PT7_PKS4_SH_21rocsparse_index_base_b
                                        ; -- End function
	.section	.AMDGPU.csdata,"",@progbits
; Kernel info:
; codeLenInByte = 924
; NumSgprs: 32
; NumVgprs: 16
; NumAgprs: 0
; TotalNumVgprs: 16
; ScratchSize: 0
; MemoryBound: 0
; FloatMode: 240
; IeeeMode: 1
; LDSByteSize: 2048 bytes/workgroup (compile time only)
; SGPRBlocks: 3
; VGPRBlocks: 1
; NumSGPRsForWavesPerEU: 32
; NumVGPRsForWavesPerEU: 16
; AccumOffset: 16
; Occupancy: 8
; WaveLimiterHint : 0
; COMPUTE_PGM_RSRC2:SCRATCH_EN: 0
; COMPUTE_PGM_RSRC2:USER_SGPR: 6
; COMPUTE_PGM_RSRC2:TRAP_HANDLER: 0
; COMPUTE_PGM_RSRC2:TGID_X_EN: 1
; COMPUTE_PGM_RSRC2:TGID_Y_EN: 0
; COMPUTE_PGM_RSRC2:TGID_Z_EN: 0
; COMPUTE_PGM_RSRC2:TIDIG_COMP_CNT: 0
; COMPUTE_PGM_RSRC3_GFX90A:ACCUM_OFFSET: 3
; COMPUTE_PGM_RSRC3_GFX90A:TG_SPLIT: 0
	.section	.text._ZN9rocsparseL17sddmm_coox_kernelILi512ELi1ELb0EfiiDF16_DF16_fEEv20rocsparse_operation_S1_16rocsparse_order_S2_T4_S3_S3_T3_NS_24const_host_device_scalarIT2_EEPKT5_lPKT6_lS7_PT7_PKS4_SH_21rocsparse_index_base_b,"axG",@progbits,_ZN9rocsparseL17sddmm_coox_kernelILi512ELi1ELb0EfiiDF16_DF16_fEEv20rocsparse_operation_S1_16rocsparse_order_S2_T4_S3_S3_T3_NS_24const_host_device_scalarIT2_EEPKT5_lPKT6_lS7_PT7_PKS4_SH_21rocsparse_index_base_b,comdat
	.globl	_ZN9rocsparseL17sddmm_coox_kernelILi512ELi1ELb0EfiiDF16_DF16_fEEv20rocsparse_operation_S1_16rocsparse_order_S2_T4_S3_S3_T3_NS_24const_host_device_scalarIT2_EEPKT5_lPKT6_lS7_PT7_PKS4_SH_21rocsparse_index_base_b ; -- Begin function _ZN9rocsparseL17sddmm_coox_kernelILi512ELi1ELb0EfiiDF16_DF16_fEEv20rocsparse_operation_S1_16rocsparse_order_S2_T4_S3_S3_T3_NS_24const_host_device_scalarIT2_EEPKT5_lPKT6_lS7_PT7_PKS4_SH_21rocsparse_index_base_b
	.p2align	8
	.type	_ZN9rocsparseL17sddmm_coox_kernelILi512ELi1ELb0EfiiDF16_DF16_fEEv20rocsparse_operation_S1_16rocsparse_order_S2_T4_S3_S3_T3_NS_24const_host_device_scalarIT2_EEPKT5_lPKT6_lS7_PT7_PKS4_SH_21rocsparse_index_base_b,@function
_ZN9rocsparseL17sddmm_coox_kernelILi512ELi1ELb0EfiiDF16_DF16_fEEv20rocsparse_operation_S1_16rocsparse_order_S2_T4_S3_S3_T3_NS_24const_host_device_scalarIT2_EEPKT5_lPKT6_lS7_PT7_PKS4_SH_21rocsparse_index_base_b: ; @_ZN9rocsparseL17sddmm_coox_kernelILi512ELi1ELb0EfiiDF16_DF16_fEEv20rocsparse_operation_S1_16rocsparse_order_S2_T4_S3_S3_T3_NS_24const_host_device_scalarIT2_EEPKT5_lPKT6_lS7_PT7_PKS4_SH_21rocsparse_index_base_b
; %bb.0:
	s_load_dwordx2 s[20:21], s[4:5], 0x68
	s_load_dwordx2 s[12:13], s[4:5], 0x20
	s_load_dwordx4 s[0:3], s[4:5], 0x40
	s_waitcnt lgkmcnt(0)
	s_bitcmp1_b32 s21, 0
	s_cselect_b64 s[10:11], -1, 0
	s_xor_b64 s[8:9], s[10:11], -1
	s_and_b64 vcc, exec, s[10:11]
	s_cbranch_vccnz .LBB53_2
; %bb.1:
	s_load_dword s12, s[12:13], 0x0
.LBB53_2:
	s_andn2_b64 vcc, exec, s[8:9]
	s_cbranch_vccnz .LBB53_4
; %bb.3:
	s_load_dword s2, s[2:3], 0x0
.LBB53_4:
	s_waitcnt lgkmcnt(0)
	v_cmp_eq_f32_e64 s[8:9], s12, 0
	v_cmp_eq_f32_e64 s[10:11], s2, 1.0
	s_and_b64 s[8:9], s[8:9], s[10:11]
	s_and_b64 vcc, exec, s[8:9]
	s_cbranch_vccnz .LBB53_27
; %bb.5:
	s_load_dwordx2 s[14:15], s[4:5], 0x18
	v_lshl_or_b32 v2, s6, 9, v0
	s_waitcnt lgkmcnt(0)
	v_cmp_gt_i32_e32 vcc, s15, v2
	s_and_saveexec_b64 s[6:7], vcc
	s_cbranch_execz .LBB53_27
; %bb.6:
	s_load_dwordx4 s[8:11], s[4:5], 0x58
	v_ashrrev_i32_e32 v3, 31, v2
	v_lshlrev_b64 v[2:3], 2, v[2:3]
	s_waitcnt lgkmcnt(0)
	v_mov_b32_e32 v1, s9
	v_add_co_u32_e32 v4, vcc, s8, v2
	v_addc_co_u32_e32 v5, vcc, v1, v3, vcc
	global_load_dword v6, v[4:5], off
	v_mov_b32_e32 v1, s11
	v_add_co_u32_e32 v4, vcc, s10, v2
	v_addc_co_u32_e32 v5, vcc, v1, v3, vcc
	global_load_dword v1, v[4:5], off
	s_load_dwordx4 s[8:11], s[4:5], 0x0
	s_load_dwordx2 s[6:7], s[4:5], 0x30
	s_waitcnt lgkmcnt(0)
	s_cmp_eq_u32 s10, 1
	s_cselect_b64 s[16:17], -1, 0
	s_cmpk_eq_i32 s8, 0x6f
	s_cselect_b64 s[18:19], -1, 0
	s_cmpk_lg_i32 s8, 0x6f
	s_cselect_b64 s[22:23], -1, 0
	s_cmp_lg_u32 s10, 1
	s_waitcnt vmcnt(1)
	v_subrev_u32_e32 v6, s20, v6
	v_ashrrev_i32_e32 v7, 31, v6
	s_cbranch_scc0 .LBB53_10
; %bb.7:
	s_andn2_b64 vcc, exec, s[18:19]
	v_pk_mov_b32 v[4:5], v[6:7], v[6:7] op_sel:[0,1]
	s_cbranch_vccnz .LBB53_9
; %bb.8:
	v_mul_lo_u32 v8, v7, s6
	v_mul_lo_u32 v9, v6, s7
	v_mad_u64_u32 v[4:5], s[24:25], v6, s6, 0
	v_add3_u32 v5, v5, v9, v8
.LBB53_9:
	s_cbranch_execz .LBB53_11
	s_branch .LBB53_14
.LBB53_10:
                                        ; implicit-def: $vgpr4_vgpr5
.LBB53_11:
	s_andn2_b64 vcc, exec, s[22:23]
	s_cbranch_vccnz .LBB53_13
; %bb.12:
	v_mul_lo_u32 v4, v7, s6
	v_mul_lo_u32 v5, v6, s7
	v_mad_u64_u32 v[6:7], s[22:23], v6, s6, 0
	v_add3_u32 v7, v7, v5, v4
.LBB53_13:
	v_pk_mov_b32 v[4:5], v[6:7], v[6:7] op_sel:[0,1]
.LBB53_14:
	s_cmp_eq_u32 s11, 1
	s_waitcnt vmcnt(0)
	v_subrev_u32_e32 v6, s20, v1
	s_cselect_b64 s[20:21], -1, 0
	s_cmpk_eq_i32 s9, 0x6f
	s_cselect_b64 s[22:23], -1, 0
	s_cmpk_lg_i32 s9, 0x6f
	s_cselect_b64 s[8:9], -1, 0
	s_cmp_lg_u32 s11, 1
	v_ashrrev_i32_e32 v7, 31, v6
	s_cbranch_scc0 .LBB53_21
; %bb.15:
	s_andn2_b64 vcc, exec, s[8:9]
	v_pk_mov_b32 v[8:9], v[6:7], v[6:7] op_sel:[0,1]
	s_cbranch_vccnz .LBB53_17
; %bb.16:
	v_mul_lo_u32 v1, v7, s0
	v_mul_lo_u32 v10, v6, s1
	v_mad_u64_u32 v[8:9], s[8:9], v6, s0, 0
	v_add3_u32 v9, v9, v10, v1
.LBB53_17:
	s_cbranch_execz .LBB53_22
; %bb.18:
	s_load_dwordx2 s[8:9], s[4:5], 0x50
	s_cmp_lt_i32 s14, 1
	s_cbranch_scc1 .LBB53_25
.LBB53_19:
	s_load_dwordx2 s[10:11], s[4:5], 0x38
	s_load_dwordx2 s[24:25], s[4:5], 0x28
	s_xor_b64 s[4:5], s[18:19], s[16:17]
	s_and_b64 s[4:5], s[4:5], exec
	s_cselect_b32 s4, 1, s6
	s_xor_b64 s[6:7], s[22:23], s[20:21]
	v_lshlrev_b64 v[6:7], 1, v[8:9]
	s_and_b64 s[6:7], s[6:7], exec
	s_waitcnt lgkmcnt(0)
	v_mov_b32_e32 v1, s11
	v_add_co_u32_e32 v6, vcc, s10, v6
	s_cselect_b32 s0, s0, 1
	v_addc_co_u32_e32 v7, vcc, v1, v7, vcc
	v_lshlrev_b64 v[4:5], 1, v[4:5]
	s_ashr_i32 s1, s0, 31
	s_ashr_i32 s5, s4, 31
	v_mov_b32_e32 v1, s25
	v_add_co_u32_e32 v4, vcc, s24, v4
	s_lshl_b64 s[0:1], s[0:1], 1
	s_lshl_b64 s[4:5], s[4:5], 1
	v_addc_co_u32_e32 v5, vcc, v1, v5, vcc
	v_mov_b32_e32 v1, 0
	v_mov_b32_e32 v8, s1
	;; [unrolled: 1-line block ×3, first 2 shown]
.LBB53_20:                              ; =>This Inner Loop Header: Depth=1
	global_load_ushort v10, v[4:5], off
	global_load_ushort v11, v[6:7], off
	v_add_co_u32_e32 v6, vcc, s0, v6
	v_addc_co_u32_e32 v7, vcc, v7, v8, vcc
	s_add_i32 s14, s14, -1
	v_add_co_u32_e32 v4, vcc, s4, v4
	v_addc_co_u32_e32 v5, vcc, v5, v9, vcc
	s_cmp_eq_u32 s14, 0
	s_waitcnt vmcnt(0)
	v_mul_f16_e32 v10, v10, v11
	v_cvt_f32_f16_e32 v10, v10
	v_add_f32_e32 v1, v1, v10
	s_cbranch_scc0 .LBB53_20
	s_branch .LBB53_26
.LBB53_21:
                                        ; implicit-def: $vgpr8_vgpr9
.LBB53_22:
	s_andn2_b64 vcc, exec, s[22:23]
	s_cbranch_vccnz .LBB53_24
; %bb.23:
	v_mul_lo_u32 v1, v7, s0
	v_mul_lo_u32 v8, v6, s1
	v_mad_u64_u32 v[6:7], s[8:9], v6, s0, 0
	v_add3_u32 v7, v7, v8, v1
.LBB53_24:
	v_pk_mov_b32 v[8:9], v[6:7], v[6:7] op_sel:[0,1]
	s_load_dwordx2 s[8:9], s[4:5], 0x50
	s_cmp_lt_i32 s14, 1
	s_cbranch_scc0 .LBB53_19
.LBB53_25:
	v_mov_b32_e32 v1, 0
.LBB53_26:
	v_lshlrev_b32_e32 v4, 2, v0
	ds_write_b32 v4, v1
	s_waitcnt lgkmcnt(0)
	v_mov_b32_e32 v1, s9
	v_add_co_u32_e32 v0, vcc, s8, v2
	v_addc_co_u32_e32 v1, vcc, v1, v3, vcc
	s_barrier
	global_load_dword v2, v[0:1], off
	ds_read_b32 v3, v4
	s_waitcnt lgkmcnt(0)
	v_mul_f32_e32 v3, s12, v3
	s_waitcnt vmcnt(0)
	v_fmac_f32_e32 v3, s2, v2
	global_store_dword v[0:1], v3, off
.LBB53_27:
	s_endpgm
	.section	.rodata,"a",@progbits
	.p2align	6, 0x0
	.amdhsa_kernel _ZN9rocsparseL17sddmm_coox_kernelILi512ELi1ELb0EfiiDF16_DF16_fEEv20rocsparse_operation_S1_16rocsparse_order_S2_T4_S3_S3_T3_NS_24const_host_device_scalarIT2_EEPKT5_lPKT6_lS7_PT7_PKS4_SH_21rocsparse_index_base_b
		.amdhsa_group_segment_fixed_size 2048
		.amdhsa_private_segment_fixed_size 0
		.amdhsa_kernarg_size 112
		.amdhsa_user_sgpr_count 6
		.amdhsa_user_sgpr_private_segment_buffer 1
		.amdhsa_user_sgpr_dispatch_ptr 0
		.amdhsa_user_sgpr_queue_ptr 0
		.amdhsa_user_sgpr_kernarg_segment_ptr 1
		.amdhsa_user_sgpr_dispatch_id 0
		.amdhsa_user_sgpr_flat_scratch_init 0
		.amdhsa_user_sgpr_kernarg_preload_length 0
		.amdhsa_user_sgpr_kernarg_preload_offset 0
		.amdhsa_user_sgpr_private_segment_size 0
		.amdhsa_uses_dynamic_stack 0
		.amdhsa_system_sgpr_private_segment_wavefront_offset 0
		.amdhsa_system_sgpr_workgroup_id_x 1
		.amdhsa_system_sgpr_workgroup_id_y 0
		.amdhsa_system_sgpr_workgroup_id_z 0
		.amdhsa_system_sgpr_workgroup_info 0
		.amdhsa_system_vgpr_workitem_id 0
		.amdhsa_next_free_vgpr 12
		.amdhsa_next_free_sgpr 26
		.amdhsa_accum_offset 12
		.amdhsa_reserve_vcc 1
		.amdhsa_reserve_flat_scratch 0
		.amdhsa_float_round_mode_32 0
		.amdhsa_float_round_mode_16_64 0
		.amdhsa_float_denorm_mode_32 3
		.amdhsa_float_denorm_mode_16_64 3
		.amdhsa_dx10_clamp 1
		.amdhsa_ieee_mode 1
		.amdhsa_fp16_overflow 0
		.amdhsa_tg_split 0
		.amdhsa_exception_fp_ieee_invalid_op 0
		.amdhsa_exception_fp_denorm_src 0
		.amdhsa_exception_fp_ieee_div_zero 0
		.amdhsa_exception_fp_ieee_overflow 0
		.amdhsa_exception_fp_ieee_underflow 0
		.amdhsa_exception_fp_ieee_inexact 0
		.amdhsa_exception_int_div_zero 0
	.end_amdhsa_kernel
	.section	.text._ZN9rocsparseL17sddmm_coox_kernelILi512ELi1ELb0EfiiDF16_DF16_fEEv20rocsparse_operation_S1_16rocsparse_order_S2_T4_S3_S3_T3_NS_24const_host_device_scalarIT2_EEPKT5_lPKT6_lS7_PT7_PKS4_SH_21rocsparse_index_base_b,"axG",@progbits,_ZN9rocsparseL17sddmm_coox_kernelILi512ELi1ELb0EfiiDF16_DF16_fEEv20rocsparse_operation_S1_16rocsparse_order_S2_T4_S3_S3_T3_NS_24const_host_device_scalarIT2_EEPKT5_lPKT6_lS7_PT7_PKS4_SH_21rocsparse_index_base_b,comdat
.Lfunc_end53:
	.size	_ZN9rocsparseL17sddmm_coox_kernelILi512ELi1ELb0EfiiDF16_DF16_fEEv20rocsparse_operation_S1_16rocsparse_order_S2_T4_S3_S3_T3_NS_24const_host_device_scalarIT2_EEPKT5_lPKT6_lS7_PT7_PKS4_SH_21rocsparse_index_base_b, .Lfunc_end53-_ZN9rocsparseL17sddmm_coox_kernelILi512ELi1ELb0EfiiDF16_DF16_fEEv20rocsparse_operation_S1_16rocsparse_order_S2_T4_S3_S3_T3_NS_24const_host_device_scalarIT2_EEPKT5_lPKT6_lS7_PT7_PKS4_SH_21rocsparse_index_base_b
                                        ; -- End function
	.section	.AMDGPU.csdata,"",@progbits
; Kernel info:
; codeLenInByte = 800
; NumSgprs: 30
; NumVgprs: 12
; NumAgprs: 0
; TotalNumVgprs: 12
; ScratchSize: 0
; MemoryBound: 0
; FloatMode: 240
; IeeeMode: 1
; LDSByteSize: 2048 bytes/workgroup (compile time only)
; SGPRBlocks: 3
; VGPRBlocks: 1
; NumSGPRsForWavesPerEU: 30
; NumVGPRsForWavesPerEU: 12
; AccumOffset: 12
; Occupancy: 8
; WaveLimiterHint : 0
; COMPUTE_PGM_RSRC2:SCRATCH_EN: 0
; COMPUTE_PGM_RSRC2:USER_SGPR: 6
; COMPUTE_PGM_RSRC2:TRAP_HANDLER: 0
; COMPUTE_PGM_RSRC2:TGID_X_EN: 1
; COMPUTE_PGM_RSRC2:TGID_Y_EN: 0
; COMPUTE_PGM_RSRC2:TGID_Z_EN: 0
; COMPUTE_PGM_RSRC2:TIDIG_COMP_CNT: 0
; COMPUTE_PGM_RSRC3_GFX90A:ACCUM_OFFSET: 2
; COMPUTE_PGM_RSRC3_GFX90A:TG_SPLIT: 0
	.section	.text._ZN9rocsparseL17sddmm_coox_kernelILi512ELi8ELb0EfllDF16_DF16_fEEv20rocsparse_operation_S1_16rocsparse_order_S2_T4_S3_S3_T3_NS_24const_host_device_scalarIT2_EEPKT5_lPKT6_lS7_PT7_PKS4_SH_21rocsparse_index_base_b,"axG",@progbits,_ZN9rocsparseL17sddmm_coox_kernelILi512ELi8ELb0EfllDF16_DF16_fEEv20rocsparse_operation_S1_16rocsparse_order_S2_T4_S3_S3_T3_NS_24const_host_device_scalarIT2_EEPKT5_lPKT6_lS7_PT7_PKS4_SH_21rocsparse_index_base_b,comdat
	.globl	_ZN9rocsparseL17sddmm_coox_kernelILi512ELi8ELb0EfllDF16_DF16_fEEv20rocsparse_operation_S1_16rocsparse_order_S2_T4_S3_S3_T3_NS_24const_host_device_scalarIT2_EEPKT5_lPKT6_lS7_PT7_PKS4_SH_21rocsparse_index_base_b ; -- Begin function _ZN9rocsparseL17sddmm_coox_kernelILi512ELi8ELb0EfllDF16_DF16_fEEv20rocsparse_operation_S1_16rocsparse_order_S2_T4_S3_S3_T3_NS_24const_host_device_scalarIT2_EEPKT5_lPKT6_lS7_PT7_PKS4_SH_21rocsparse_index_base_b
	.p2align	8
	.type	_ZN9rocsparseL17sddmm_coox_kernelILi512ELi8ELb0EfllDF16_DF16_fEEv20rocsparse_operation_S1_16rocsparse_order_S2_T4_S3_S3_T3_NS_24const_host_device_scalarIT2_EEPKT5_lPKT6_lS7_PT7_PKS4_SH_21rocsparse_index_base_b,@function
_ZN9rocsparseL17sddmm_coox_kernelILi512ELi8ELb0EfllDF16_DF16_fEEv20rocsparse_operation_S1_16rocsparse_order_S2_T4_S3_S3_T3_NS_24const_host_device_scalarIT2_EEPKT5_lPKT6_lS7_PT7_PKS4_SH_21rocsparse_index_base_b: ; @_ZN9rocsparseL17sddmm_coox_kernelILi512ELi8ELb0EfllDF16_DF16_fEEv20rocsparse_operation_S1_16rocsparse_order_S2_T4_S3_S3_T3_NS_24const_host_device_scalarIT2_EEPKT5_lPKT6_lS7_PT7_PKS4_SH_21rocsparse_index_base_b
; %bb.0:
	s_load_dwordx2 s[18:19], s[4:5], 0x78
	s_load_dwordx2 s[16:17], s[4:5], 0x30
	s_load_dwordx4 s[0:3], s[4:5], 0x50
	s_waitcnt lgkmcnt(0)
	s_bitcmp1_b32 s19, 0
	s_cselect_b64 s[10:11], -1, 0
	s_xor_b64 s[8:9], s[10:11], -1
	s_and_b64 vcc, exec, s[10:11]
	s_cbranch_vccnz .LBB54_2
; %bb.1:
	s_load_dword s16, s[16:17], 0x0
.LBB54_2:
	s_andn2_b64 vcc, exec, s[8:9]
	s_cbranch_vccnz .LBB54_4
; %bb.3:
	s_load_dword s2, s[2:3], 0x0
.LBB54_4:
	s_waitcnt lgkmcnt(0)
	v_cmp_eq_f32_e64 s[8:9], s16, 0
	v_cmp_eq_f32_e64 s[10:11], s2, 1.0
	s_and_b64 s[8:9], s[8:9], s[10:11]
	s_and_b64 vcc, exec, s[8:9]
	s_cbranch_vccnz .LBB54_34
; %bb.5:
	s_load_dwordx4 s[8:11], s[4:5], 0x20
	v_lshrrev_b32_e32 v10, 3, v0
	v_lshl_or_b32 v2, s6, 6, v10
	v_mov_b32_e32 v3, 0
	s_waitcnt lgkmcnt(0)
	v_cmp_gt_i64_e32 vcc, s[10:11], v[2:3]
	s_and_saveexec_b64 s[6:7], vcc
	s_cbranch_execz .LBB54_34
; %bb.6:
	s_load_dwordx4 s[12:15], s[4:5], 0x68
	v_lshlrev_b64 v[4:5], 3, v[2:3]
	s_mov_b32 s3, 0
	s_waitcnt lgkmcnt(0)
	v_mov_b32_e32 v1, s13
	v_add_co_u32_e32 v6, vcc, s12, v4
	v_addc_co_u32_e32 v7, vcc, v1, v5, vcc
	global_load_dwordx2 v[8:9], v[6:7], off
	v_mov_b32_e32 v1, s15
	v_add_co_u32_e32 v4, vcc, s14, v4
	v_addc_co_u32_e32 v5, vcc, v1, v5, vcc
	global_load_dwordx2 v[6:7], v[4:5], off
	s_load_dwordx4 s[12:15], s[4:5], 0x0
	s_load_dwordx2 s[10:11], s[4:5], 0x40
	s_waitcnt lgkmcnt(0)
	s_cmp_eq_u32 s14, 1
	s_cselect_b64 s[20:21], -1, 0
	s_cmpk_eq_i32 s12, 0x6f
	s_cselect_b64 s[22:23], -1, 0
	s_cmpk_lg_i32 s12, 0x6f
	s_cselect_b64 s[6:7], -1, 0
	s_cmp_lg_u32 s14, 1
	s_waitcnt vmcnt(1)
	v_subrev_co_u32_e32 v8, vcc, s18, v8
	v_subbrev_co_u32_e32 v9, vcc, 0, v9, vcc
	s_cbranch_scc0 .LBB54_10
; %bb.7:
	s_andn2_b64 vcc, exec, s[22:23]
	v_pk_mov_b32 v[4:5], v[8:9], v[8:9] op_sel:[0,1]
	s_cbranch_vccnz .LBB54_9
; %bb.8:
	v_mul_lo_u32 v1, v9, s10
	v_mul_lo_u32 v11, v8, s11
	v_mad_u64_u32 v[4:5], s[24:25], v8, s10, 0
	v_add3_u32 v5, v5, v11, v1
.LBB54_9:
	s_cbranch_execz .LBB54_11
	s_branch .LBB54_14
.LBB54_10:
                                        ; implicit-def: $vgpr4_vgpr5
.LBB54_11:
	s_andn2_b64 vcc, exec, s[6:7]
	s_cbranch_vccnz .LBB54_13
; %bb.12:
	v_mul_lo_u32 v1, v9, s10
	v_mul_lo_u32 v4, v8, s11
	v_mad_u64_u32 v[8:9], s[6:7], v8, s10, 0
	v_add3_u32 v9, v9, v4, v1
.LBB54_13:
	v_pk_mov_b32 v[4:5], v[8:9], v[8:9] op_sel:[0,1]
.LBB54_14:
	s_cmp_eq_u32 s15, 1
	s_cselect_b64 s[24:25], -1, 0
	s_cmpk_eq_i32 s13, 0x6f
	v_mov_b32_e32 v1, s3
	s_cselect_b64 s[26:27], -1, 0
	s_cmpk_lg_i32 s13, 0x6f
	s_waitcnt vmcnt(0)
	v_subrev_co_u32_e32 v8, vcc, s18, v6
	s_cselect_b64 s[6:7], -1, 0
	s_cmp_lg_u32 s15, 1
	v_subb_co_u32_e32 v9, vcc, v7, v1, vcc
	s_cbranch_scc0 .LBB54_18
; %bb.15:
	s_andn2_b64 vcc, exec, s[6:7]
	v_pk_mov_b32 v[6:7], v[8:9], v[8:9] op_sel:[0,1]
	s_cbranch_vccnz .LBB54_17
; %bb.16:
	v_mul_lo_u32 v1, v9, s0
	v_mul_lo_u32 v11, v8, s1
	v_mad_u64_u32 v[6:7], s[6:7], v8, s0, 0
	v_add3_u32 v7, v7, v11, v1
.LBB54_17:
	s_cbranch_execz .LBB54_19
	s_branch .LBB54_22
.LBB54_18:
                                        ; implicit-def: $vgpr6_vgpr7
.LBB54_19:
	s_andn2_b64 vcc, exec, s[26:27]
	s_cbranch_vccnz .LBB54_21
; %bb.20:
	v_mul_lo_u32 v1, v9, s0
	v_mul_lo_u32 v6, v8, s1
	v_mad_u64_u32 v[8:9], s[6:7], v8, s0, 0
	v_add3_u32 v9, v9, v6, v1
.LBB54_21:
	v_pk_mov_b32 v[6:7], v[8:9], v[8:9] op_sel:[0,1]
.LBB54_22:
	s_load_dwordx2 s[6:7], s[4:5], 0x60
	v_and_b32_e32 v0, 7, v0
	v_mov_b32_e32 v1, 0
	v_cmp_gt_i64_e32 vcc, s[8:9], v[0:1]
	s_and_saveexec_b64 s[12:13], vcc
	s_cbranch_execz .LBB54_26
; %bb.23:
	s_load_dwordx2 s[14:15], s[4:5], 0x38
	s_load_dwordx2 s[18:19], s[4:5], 0x48
	s_xor_b64 s[4:5], s[22:23], s[20:21]
	s_and_b64 s[4:5], s[4:5], exec
	s_cselect_b32 s5, 0, s11
	s_cselect_b32 s4, 1, s10
	s_xor_b64 s[10:11], s[26:27], s[24:25]
	s_and_b64 s[10:11], s[10:11], exec
	s_cselect_b32 s0, s0, 1
	v_mad_u64_u32 v[8:9], s[10:11], s0, v0, 0
	s_cselect_b32 s1, s1, 0
	v_mov_b32_e32 v12, v9
	v_mad_u64_u32 v[12:13], s[10:11], s1, v0, v[12:13]
	v_mov_b32_e32 v9, v12
	v_lshlrev_b64 v[8:9], 1, v[8:9]
	v_lshlrev_b64 v[6:7], 1, v[6:7]
	v_add_co_u32_e32 v6, vcc, v8, v6
	v_addc_co_u32_e32 v7, vcc, v9, v7, vcc
	s_waitcnt lgkmcnt(0)
	v_mov_b32_e32 v8, s19
	v_add_co_u32_e32 v6, vcc, s18, v6
	v_addc_co_u32_e32 v7, vcc, v8, v7, vcc
	v_mad_u64_u32 v[8:9], s[10:11], s4, v0, 0
	v_mov_b32_e32 v12, v9
	v_mad_u64_u32 v[12:13], s[10:11], s5, v0, v[12:13]
	v_mov_b32_e32 v9, v12
	v_lshlrev_b64 v[8:9], 1, v[8:9]
	v_lshlrev_b64 v[4:5], 1, v[4:5]
	v_add_co_u32_e32 v4, vcc, v8, v4
	v_addc_co_u32_e32 v5, vcc, v9, v5, vcc
	s_lshl_b64 s[0:1], s[0:1], 4
	v_mov_b32_e32 v8, s15
	v_add_co_u32_e32 v4, vcc, s14, v4
	s_lshl_b64 s[10:11], s[4:5], 4
	v_mov_b32_e32 v13, 0
	v_addc_co_u32_e32 v5, vcc, v8, v5, vcc
	s_mov_b64 s[4:5], 0
	v_mov_b32_e32 v11, s1
	v_mov_b32_e32 v12, s11
	v_pk_mov_b32 v[8:9], v[0:1], v[0:1] op_sel:[0,1]
	v_mov_b32_e32 v1, v13
.LBB54_24:                              ; =>This Inner Loop Header: Depth=1
	global_load_ushort v13, v[4:5], off
	global_load_ushort v14, v[6:7], off
	v_add_co_u32_e32 v8, vcc, 8, v8
	v_addc_co_u32_e32 v9, vcc, 0, v9, vcc
	v_add_co_u32_e32 v6, vcc, s0, v6
	v_addc_co_u32_e32 v7, vcc, v7, v11, vcc
	;; [unrolled: 2-line block ×3, first 2 shown]
	v_cmp_le_i64_e32 vcc, s[8:9], v[8:9]
	s_or_b64 s[4:5], vcc, s[4:5]
	s_waitcnt vmcnt(0)
	v_mul_f16_e32 v13, v13, v14
	v_cvt_f32_f16_e32 v13, v13
	v_add_f32_e32 v1, v1, v13
	s_andn2_b64 exec, exec, s[4:5]
	s_cbranch_execnz .LBB54_24
; %bb.25:
	s_or_b64 exec, exec, s[4:5]
.LBB54_26:
	s_or_b64 exec, exec, s[12:13]
	v_lshlrev_b32_e32 v4, 2, v0
	v_lshl_or_b32 v4, v10, 5, v4
	v_cmp_gt_u32_e32 vcc, 4, v0
	ds_write_b32 v4, v1
	s_waitcnt lgkmcnt(0)
	s_barrier
	s_and_saveexec_b64 s[0:1], vcc
	s_cbranch_execz .LBB54_28
; %bb.27:
	ds_read2_b32 v[6:7], v4 offset1:4
	s_waitcnt lgkmcnt(0)
	v_add_f32_e32 v1, v7, v6
	ds_write_b32 v4, v1
.LBB54_28:
	s_or_b64 exec, exec, s[0:1]
	v_cmp_gt_u32_e32 vcc, 2, v0
	s_waitcnt lgkmcnt(0)
	s_barrier
	s_and_saveexec_b64 s[0:1], vcc
	s_cbranch_execz .LBB54_30
; %bb.29:
	ds_read2_b32 v[6:7], v4 offset1:2
	s_waitcnt lgkmcnt(0)
	v_add_f32_e32 v1, v7, v6
	ds_write_b32 v4, v1
.LBB54_30:
	s_or_b64 exec, exec, s[0:1]
	v_cmp_eq_u32_e32 vcc, 0, v0
	v_lshlrev_b32_e32 v0, 5, v10
	s_waitcnt lgkmcnt(0)
	s_barrier
	s_and_saveexec_b64 s[0:1], vcc
	s_cbranch_execz .LBB54_32
; %bb.31:
	ds_read_b32 v1, v0 offset:4
	ds_read_b32 v5, v4
	s_waitcnt lgkmcnt(0)
	v_add_f32_e32 v1, v1, v5
	ds_write_b32 v4, v1
.LBB54_32:
	s_or_b64 exec, exec, s[0:1]
	s_waitcnt lgkmcnt(0)
	s_barrier
	s_and_b64 exec, exec, vcc
	s_cbranch_execz .LBB54_34
; %bb.33:
	v_lshlrev_b64 v[2:3], 2, v[2:3]
	v_mov_b32_e32 v1, s7
	v_add_co_u32_e32 v2, vcc, s6, v2
	v_addc_co_u32_e32 v3, vcc, v1, v3, vcc
	global_load_dword v1, v[2:3], off
	ds_read_b32 v0, v0
	s_waitcnt lgkmcnt(0)
	v_mul_f32_e32 v0, s16, v0
	s_waitcnt vmcnt(0)
	v_fmac_f32_e32 v0, s2, v1
	global_store_dword v[2:3], v0, off
.LBB54_34:
	s_endpgm
	.section	.rodata,"a",@progbits
	.p2align	6, 0x0
	.amdhsa_kernel _ZN9rocsparseL17sddmm_coox_kernelILi512ELi8ELb0EfllDF16_DF16_fEEv20rocsparse_operation_S1_16rocsparse_order_S2_T4_S3_S3_T3_NS_24const_host_device_scalarIT2_EEPKT5_lPKT6_lS7_PT7_PKS4_SH_21rocsparse_index_base_b
		.amdhsa_group_segment_fixed_size 2048
		.amdhsa_private_segment_fixed_size 0
		.amdhsa_kernarg_size 128
		.amdhsa_user_sgpr_count 6
		.amdhsa_user_sgpr_private_segment_buffer 1
		.amdhsa_user_sgpr_dispatch_ptr 0
		.amdhsa_user_sgpr_queue_ptr 0
		.amdhsa_user_sgpr_kernarg_segment_ptr 1
		.amdhsa_user_sgpr_dispatch_id 0
		.amdhsa_user_sgpr_flat_scratch_init 0
		.amdhsa_user_sgpr_kernarg_preload_length 0
		.amdhsa_user_sgpr_kernarg_preload_offset 0
		.amdhsa_user_sgpr_private_segment_size 0
		.amdhsa_uses_dynamic_stack 0
		.amdhsa_system_sgpr_private_segment_wavefront_offset 0
		.amdhsa_system_sgpr_workgroup_id_x 1
		.amdhsa_system_sgpr_workgroup_id_y 0
		.amdhsa_system_sgpr_workgroup_id_z 0
		.amdhsa_system_sgpr_workgroup_info 0
		.amdhsa_system_vgpr_workitem_id 0
		.amdhsa_next_free_vgpr 15
		.amdhsa_next_free_sgpr 28
		.amdhsa_accum_offset 16
		.amdhsa_reserve_vcc 1
		.amdhsa_reserve_flat_scratch 0
		.amdhsa_float_round_mode_32 0
		.amdhsa_float_round_mode_16_64 0
		.amdhsa_float_denorm_mode_32 3
		.amdhsa_float_denorm_mode_16_64 3
		.amdhsa_dx10_clamp 1
		.amdhsa_ieee_mode 1
		.amdhsa_fp16_overflow 0
		.amdhsa_tg_split 0
		.amdhsa_exception_fp_ieee_invalid_op 0
		.amdhsa_exception_fp_denorm_src 0
		.amdhsa_exception_fp_ieee_div_zero 0
		.amdhsa_exception_fp_ieee_overflow 0
		.amdhsa_exception_fp_ieee_underflow 0
		.amdhsa_exception_fp_ieee_inexact 0
		.amdhsa_exception_int_div_zero 0
	.end_amdhsa_kernel
	.section	.text._ZN9rocsparseL17sddmm_coox_kernelILi512ELi8ELb0EfllDF16_DF16_fEEv20rocsparse_operation_S1_16rocsparse_order_S2_T4_S3_S3_T3_NS_24const_host_device_scalarIT2_EEPKT5_lPKT6_lS7_PT7_PKS4_SH_21rocsparse_index_base_b,"axG",@progbits,_ZN9rocsparseL17sddmm_coox_kernelILi512ELi8ELb0EfllDF16_DF16_fEEv20rocsparse_operation_S1_16rocsparse_order_S2_T4_S3_S3_T3_NS_24const_host_device_scalarIT2_EEPKT5_lPKT6_lS7_PT7_PKS4_SH_21rocsparse_index_base_b,comdat
.Lfunc_end54:
	.size	_ZN9rocsparseL17sddmm_coox_kernelILi512ELi8ELb0EfllDF16_DF16_fEEv20rocsparse_operation_S1_16rocsparse_order_S2_T4_S3_S3_T3_NS_24const_host_device_scalarIT2_EEPKT5_lPKT6_lS7_PT7_PKS4_SH_21rocsparse_index_base_b, .Lfunc_end54-_ZN9rocsparseL17sddmm_coox_kernelILi512ELi8ELb0EfllDF16_DF16_fEEv20rocsparse_operation_S1_16rocsparse_order_S2_T4_S3_S3_T3_NS_24const_host_device_scalarIT2_EEPKT5_lPKT6_lS7_PT7_PKS4_SH_21rocsparse_index_base_b
                                        ; -- End function
	.section	.AMDGPU.csdata,"",@progbits
; Kernel info:
; codeLenInByte = 1100
; NumSgprs: 32
; NumVgprs: 15
; NumAgprs: 0
; TotalNumVgprs: 15
; ScratchSize: 0
; MemoryBound: 0
; FloatMode: 240
; IeeeMode: 1
; LDSByteSize: 2048 bytes/workgroup (compile time only)
; SGPRBlocks: 3
; VGPRBlocks: 1
; NumSGPRsForWavesPerEU: 32
; NumVGPRsForWavesPerEU: 15
; AccumOffset: 16
; Occupancy: 8
; WaveLimiterHint : 0
; COMPUTE_PGM_RSRC2:SCRATCH_EN: 0
; COMPUTE_PGM_RSRC2:USER_SGPR: 6
; COMPUTE_PGM_RSRC2:TRAP_HANDLER: 0
; COMPUTE_PGM_RSRC2:TGID_X_EN: 1
; COMPUTE_PGM_RSRC2:TGID_Y_EN: 0
; COMPUTE_PGM_RSRC2:TGID_Z_EN: 0
; COMPUTE_PGM_RSRC2:TIDIG_COMP_CNT: 0
; COMPUTE_PGM_RSRC3_GFX90A:ACCUM_OFFSET: 3
; COMPUTE_PGM_RSRC3_GFX90A:TG_SPLIT: 0
	.section	.text._ZN9rocsparseL17sddmm_coox_kernelILi512ELi4ELb0EfllDF16_DF16_fEEv20rocsparse_operation_S1_16rocsparse_order_S2_T4_S3_S3_T3_NS_24const_host_device_scalarIT2_EEPKT5_lPKT6_lS7_PT7_PKS4_SH_21rocsparse_index_base_b,"axG",@progbits,_ZN9rocsparseL17sddmm_coox_kernelILi512ELi4ELb0EfllDF16_DF16_fEEv20rocsparse_operation_S1_16rocsparse_order_S2_T4_S3_S3_T3_NS_24const_host_device_scalarIT2_EEPKT5_lPKT6_lS7_PT7_PKS4_SH_21rocsparse_index_base_b,comdat
	.globl	_ZN9rocsparseL17sddmm_coox_kernelILi512ELi4ELb0EfllDF16_DF16_fEEv20rocsparse_operation_S1_16rocsparse_order_S2_T4_S3_S3_T3_NS_24const_host_device_scalarIT2_EEPKT5_lPKT6_lS7_PT7_PKS4_SH_21rocsparse_index_base_b ; -- Begin function _ZN9rocsparseL17sddmm_coox_kernelILi512ELi4ELb0EfllDF16_DF16_fEEv20rocsparse_operation_S1_16rocsparse_order_S2_T4_S3_S3_T3_NS_24const_host_device_scalarIT2_EEPKT5_lPKT6_lS7_PT7_PKS4_SH_21rocsparse_index_base_b
	.p2align	8
	.type	_ZN9rocsparseL17sddmm_coox_kernelILi512ELi4ELb0EfllDF16_DF16_fEEv20rocsparse_operation_S1_16rocsparse_order_S2_T4_S3_S3_T3_NS_24const_host_device_scalarIT2_EEPKT5_lPKT6_lS7_PT7_PKS4_SH_21rocsparse_index_base_b,@function
_ZN9rocsparseL17sddmm_coox_kernelILi512ELi4ELb0EfllDF16_DF16_fEEv20rocsparse_operation_S1_16rocsparse_order_S2_T4_S3_S3_T3_NS_24const_host_device_scalarIT2_EEPKT5_lPKT6_lS7_PT7_PKS4_SH_21rocsparse_index_base_b: ; @_ZN9rocsparseL17sddmm_coox_kernelILi512ELi4ELb0EfllDF16_DF16_fEEv20rocsparse_operation_S1_16rocsparse_order_S2_T4_S3_S3_T3_NS_24const_host_device_scalarIT2_EEPKT5_lPKT6_lS7_PT7_PKS4_SH_21rocsparse_index_base_b
; %bb.0:
	s_load_dwordx2 s[18:19], s[4:5], 0x78
	s_load_dwordx2 s[16:17], s[4:5], 0x30
	s_load_dwordx4 s[0:3], s[4:5], 0x50
	s_waitcnt lgkmcnt(0)
	s_bitcmp1_b32 s19, 0
	s_cselect_b64 s[10:11], -1, 0
	s_xor_b64 s[8:9], s[10:11], -1
	s_and_b64 vcc, exec, s[10:11]
	s_cbranch_vccnz .LBB55_2
; %bb.1:
	s_load_dword s16, s[16:17], 0x0
.LBB55_2:
	s_andn2_b64 vcc, exec, s[8:9]
	s_cbranch_vccnz .LBB55_4
; %bb.3:
	s_load_dword s2, s[2:3], 0x0
.LBB55_4:
	s_waitcnt lgkmcnt(0)
	v_cmp_eq_f32_e64 s[8:9], s16, 0
	v_cmp_eq_f32_e64 s[10:11], s2, 1.0
	s_and_b64 s[8:9], s[8:9], s[10:11]
	s_and_b64 vcc, exec, s[8:9]
	s_cbranch_vccnz .LBB55_32
; %bb.5:
	s_load_dwordx4 s[8:11], s[4:5], 0x20
	v_lshrrev_b32_e32 v10, 2, v0
	v_lshl_or_b32 v2, s6, 7, v10
	v_mov_b32_e32 v3, 0
	s_waitcnt lgkmcnt(0)
	v_cmp_gt_i64_e32 vcc, s[10:11], v[2:3]
	s_and_saveexec_b64 s[6:7], vcc
	s_cbranch_execz .LBB55_32
; %bb.6:
	s_load_dwordx4 s[12:15], s[4:5], 0x68
	v_lshlrev_b64 v[4:5], 3, v[2:3]
	s_mov_b32 s3, 0
	s_waitcnt lgkmcnt(0)
	v_mov_b32_e32 v1, s13
	v_add_co_u32_e32 v6, vcc, s12, v4
	v_addc_co_u32_e32 v7, vcc, v1, v5, vcc
	global_load_dwordx2 v[8:9], v[6:7], off
	v_mov_b32_e32 v1, s15
	v_add_co_u32_e32 v4, vcc, s14, v4
	v_addc_co_u32_e32 v5, vcc, v1, v5, vcc
	global_load_dwordx2 v[6:7], v[4:5], off
	s_load_dwordx4 s[12:15], s[4:5], 0x0
	s_load_dwordx2 s[10:11], s[4:5], 0x40
	s_waitcnt lgkmcnt(0)
	s_cmp_eq_u32 s14, 1
	s_cselect_b64 s[20:21], -1, 0
	s_cmpk_eq_i32 s12, 0x6f
	s_cselect_b64 s[22:23], -1, 0
	s_cmpk_lg_i32 s12, 0x6f
	s_cselect_b64 s[6:7], -1, 0
	s_cmp_lg_u32 s14, 1
	s_waitcnt vmcnt(1)
	v_subrev_co_u32_e32 v8, vcc, s18, v8
	v_subbrev_co_u32_e32 v9, vcc, 0, v9, vcc
	s_cbranch_scc0 .LBB55_10
; %bb.7:
	s_andn2_b64 vcc, exec, s[22:23]
	v_pk_mov_b32 v[4:5], v[8:9], v[8:9] op_sel:[0,1]
	s_cbranch_vccnz .LBB55_9
; %bb.8:
	v_mul_lo_u32 v1, v9, s10
	v_mul_lo_u32 v11, v8, s11
	v_mad_u64_u32 v[4:5], s[24:25], v8, s10, 0
	v_add3_u32 v5, v5, v11, v1
.LBB55_9:
	s_cbranch_execz .LBB55_11
	s_branch .LBB55_14
.LBB55_10:
                                        ; implicit-def: $vgpr4_vgpr5
.LBB55_11:
	s_andn2_b64 vcc, exec, s[6:7]
	s_cbranch_vccnz .LBB55_13
; %bb.12:
	v_mul_lo_u32 v1, v9, s10
	v_mul_lo_u32 v4, v8, s11
	v_mad_u64_u32 v[8:9], s[6:7], v8, s10, 0
	v_add3_u32 v9, v9, v4, v1
.LBB55_13:
	v_pk_mov_b32 v[4:5], v[8:9], v[8:9] op_sel:[0,1]
.LBB55_14:
	s_cmp_eq_u32 s15, 1
	s_cselect_b64 s[24:25], -1, 0
	s_cmpk_eq_i32 s13, 0x6f
	v_mov_b32_e32 v1, s3
	s_cselect_b64 s[26:27], -1, 0
	s_cmpk_lg_i32 s13, 0x6f
	s_waitcnt vmcnt(0)
	v_subrev_co_u32_e32 v8, vcc, s18, v6
	s_cselect_b64 s[6:7], -1, 0
	s_cmp_lg_u32 s15, 1
	v_subb_co_u32_e32 v9, vcc, v7, v1, vcc
	s_cbranch_scc0 .LBB55_18
; %bb.15:
	s_andn2_b64 vcc, exec, s[6:7]
	v_pk_mov_b32 v[6:7], v[8:9], v[8:9] op_sel:[0,1]
	s_cbranch_vccnz .LBB55_17
; %bb.16:
	v_mul_lo_u32 v1, v9, s0
	v_mul_lo_u32 v11, v8, s1
	v_mad_u64_u32 v[6:7], s[6:7], v8, s0, 0
	v_add3_u32 v7, v7, v11, v1
.LBB55_17:
	s_cbranch_execz .LBB55_19
	s_branch .LBB55_22
.LBB55_18:
                                        ; implicit-def: $vgpr6_vgpr7
.LBB55_19:
	s_andn2_b64 vcc, exec, s[26:27]
	s_cbranch_vccnz .LBB55_21
; %bb.20:
	v_mul_lo_u32 v1, v9, s0
	v_mul_lo_u32 v6, v8, s1
	v_mad_u64_u32 v[8:9], s[6:7], v8, s0, 0
	v_add3_u32 v9, v9, v6, v1
.LBB55_21:
	v_pk_mov_b32 v[6:7], v[8:9], v[8:9] op_sel:[0,1]
.LBB55_22:
	s_load_dwordx2 s[6:7], s[4:5], 0x60
	v_and_b32_e32 v0, 3, v0
	v_mov_b32_e32 v1, 0
	v_cmp_gt_i64_e32 vcc, s[8:9], v[0:1]
	s_and_saveexec_b64 s[12:13], vcc
	s_cbranch_execz .LBB55_26
; %bb.23:
	s_load_dwordx2 s[14:15], s[4:5], 0x38
	s_load_dwordx2 s[18:19], s[4:5], 0x48
	s_xor_b64 s[4:5], s[22:23], s[20:21]
	s_and_b64 s[4:5], s[4:5], exec
	s_cselect_b32 s5, 0, s11
	s_cselect_b32 s4, 1, s10
	s_xor_b64 s[10:11], s[26:27], s[24:25]
	s_and_b64 s[10:11], s[10:11], exec
	s_cselect_b32 s0, s0, 1
	v_mad_u64_u32 v[8:9], s[10:11], s0, v0, 0
	s_cselect_b32 s1, s1, 0
	v_mov_b32_e32 v12, v9
	v_mad_u64_u32 v[12:13], s[10:11], s1, v0, v[12:13]
	v_mov_b32_e32 v9, v12
	v_lshlrev_b64 v[8:9], 1, v[8:9]
	v_lshlrev_b64 v[6:7], 1, v[6:7]
	v_add_co_u32_e32 v6, vcc, v8, v6
	v_addc_co_u32_e32 v7, vcc, v9, v7, vcc
	s_waitcnt lgkmcnt(0)
	v_mov_b32_e32 v8, s19
	v_add_co_u32_e32 v6, vcc, s18, v6
	v_addc_co_u32_e32 v7, vcc, v8, v7, vcc
	v_mad_u64_u32 v[8:9], s[10:11], s4, v0, 0
	v_mov_b32_e32 v12, v9
	v_mad_u64_u32 v[12:13], s[10:11], s5, v0, v[12:13]
	v_mov_b32_e32 v9, v12
	v_lshlrev_b64 v[8:9], 1, v[8:9]
	v_lshlrev_b64 v[4:5], 1, v[4:5]
	v_add_co_u32_e32 v4, vcc, v8, v4
	v_addc_co_u32_e32 v5, vcc, v9, v5, vcc
	s_lshl_b64 s[0:1], s[0:1], 3
	v_mov_b32_e32 v8, s15
	v_add_co_u32_e32 v4, vcc, s14, v4
	s_lshl_b64 s[10:11], s[4:5], 3
	v_mov_b32_e32 v13, 0
	v_addc_co_u32_e32 v5, vcc, v8, v5, vcc
	s_mov_b64 s[4:5], 0
	v_mov_b32_e32 v11, s1
	v_mov_b32_e32 v12, s11
	v_pk_mov_b32 v[8:9], v[0:1], v[0:1] op_sel:[0,1]
	v_mov_b32_e32 v1, v13
.LBB55_24:                              ; =>This Inner Loop Header: Depth=1
	global_load_ushort v13, v[4:5], off
	global_load_ushort v14, v[6:7], off
	v_add_co_u32_e32 v8, vcc, 4, v8
	v_addc_co_u32_e32 v9, vcc, 0, v9, vcc
	v_add_co_u32_e32 v6, vcc, s0, v6
	v_addc_co_u32_e32 v7, vcc, v7, v11, vcc
	;; [unrolled: 2-line block ×3, first 2 shown]
	v_cmp_le_i64_e32 vcc, s[8:9], v[8:9]
	s_or_b64 s[4:5], vcc, s[4:5]
	s_waitcnt vmcnt(0)
	v_mul_f16_e32 v13, v13, v14
	v_cvt_f32_f16_e32 v13, v13
	v_add_f32_e32 v1, v1, v13
	s_andn2_b64 exec, exec, s[4:5]
	s_cbranch_execnz .LBB55_24
; %bb.25:
	s_or_b64 exec, exec, s[4:5]
.LBB55_26:
	s_or_b64 exec, exec, s[12:13]
	v_lshlrev_b32_e32 v4, 2, v0
	v_lshl_or_b32 v4, v10, 4, v4
	v_cmp_gt_u32_e32 vcc, 2, v0
	ds_write_b32 v4, v1
	s_waitcnt lgkmcnt(0)
	s_barrier
	s_and_saveexec_b64 s[0:1], vcc
	s_cbranch_execz .LBB55_28
; %bb.27:
	ds_read2_b32 v[6:7], v4 offset1:2
	s_waitcnt lgkmcnt(0)
	v_add_f32_e32 v1, v7, v6
	ds_write_b32 v4, v1
.LBB55_28:
	s_or_b64 exec, exec, s[0:1]
	v_cmp_eq_u32_e32 vcc, 0, v0
	v_lshlrev_b32_e32 v0, 4, v10
	s_waitcnt lgkmcnt(0)
	s_barrier
	s_and_saveexec_b64 s[0:1], vcc
	s_cbranch_execz .LBB55_30
; %bb.29:
	ds_read_b32 v1, v0 offset:4
	ds_read_b32 v5, v4
	s_waitcnt lgkmcnt(0)
	v_add_f32_e32 v1, v1, v5
	ds_write_b32 v4, v1
.LBB55_30:
	s_or_b64 exec, exec, s[0:1]
	s_waitcnt lgkmcnt(0)
	s_barrier
	s_and_b64 exec, exec, vcc
	s_cbranch_execz .LBB55_32
; %bb.31:
	v_lshlrev_b64 v[2:3], 2, v[2:3]
	v_mov_b32_e32 v1, s7
	v_add_co_u32_e32 v2, vcc, s6, v2
	v_addc_co_u32_e32 v3, vcc, v1, v3, vcc
	global_load_dword v1, v[2:3], off
	ds_read_b32 v0, v0
	s_waitcnt lgkmcnt(0)
	v_mul_f32_e32 v0, s16, v0
	s_waitcnt vmcnt(0)
	v_fmac_f32_e32 v0, s2, v1
	global_store_dword v[2:3], v0, off
.LBB55_32:
	s_endpgm
	.section	.rodata,"a",@progbits
	.p2align	6, 0x0
	.amdhsa_kernel _ZN9rocsparseL17sddmm_coox_kernelILi512ELi4ELb0EfllDF16_DF16_fEEv20rocsparse_operation_S1_16rocsparse_order_S2_T4_S3_S3_T3_NS_24const_host_device_scalarIT2_EEPKT5_lPKT6_lS7_PT7_PKS4_SH_21rocsparse_index_base_b
		.amdhsa_group_segment_fixed_size 2048
		.amdhsa_private_segment_fixed_size 0
		.amdhsa_kernarg_size 128
		.amdhsa_user_sgpr_count 6
		.amdhsa_user_sgpr_private_segment_buffer 1
		.amdhsa_user_sgpr_dispatch_ptr 0
		.amdhsa_user_sgpr_queue_ptr 0
		.amdhsa_user_sgpr_kernarg_segment_ptr 1
		.amdhsa_user_sgpr_dispatch_id 0
		.amdhsa_user_sgpr_flat_scratch_init 0
		.amdhsa_user_sgpr_kernarg_preload_length 0
		.amdhsa_user_sgpr_kernarg_preload_offset 0
		.amdhsa_user_sgpr_private_segment_size 0
		.amdhsa_uses_dynamic_stack 0
		.amdhsa_system_sgpr_private_segment_wavefront_offset 0
		.amdhsa_system_sgpr_workgroup_id_x 1
		.amdhsa_system_sgpr_workgroup_id_y 0
		.amdhsa_system_sgpr_workgroup_id_z 0
		.amdhsa_system_sgpr_workgroup_info 0
		.amdhsa_system_vgpr_workitem_id 0
		.amdhsa_next_free_vgpr 15
		.amdhsa_next_free_sgpr 28
		.amdhsa_accum_offset 16
		.amdhsa_reserve_vcc 1
		.amdhsa_reserve_flat_scratch 0
		.amdhsa_float_round_mode_32 0
		.amdhsa_float_round_mode_16_64 0
		.amdhsa_float_denorm_mode_32 3
		.amdhsa_float_denorm_mode_16_64 3
		.amdhsa_dx10_clamp 1
		.amdhsa_ieee_mode 1
		.amdhsa_fp16_overflow 0
		.amdhsa_tg_split 0
		.amdhsa_exception_fp_ieee_invalid_op 0
		.amdhsa_exception_fp_denorm_src 0
		.amdhsa_exception_fp_ieee_div_zero 0
		.amdhsa_exception_fp_ieee_overflow 0
		.amdhsa_exception_fp_ieee_underflow 0
		.amdhsa_exception_fp_ieee_inexact 0
		.amdhsa_exception_int_div_zero 0
	.end_amdhsa_kernel
	.section	.text._ZN9rocsparseL17sddmm_coox_kernelILi512ELi4ELb0EfllDF16_DF16_fEEv20rocsparse_operation_S1_16rocsparse_order_S2_T4_S3_S3_T3_NS_24const_host_device_scalarIT2_EEPKT5_lPKT6_lS7_PT7_PKS4_SH_21rocsparse_index_base_b,"axG",@progbits,_ZN9rocsparseL17sddmm_coox_kernelILi512ELi4ELb0EfllDF16_DF16_fEEv20rocsparse_operation_S1_16rocsparse_order_S2_T4_S3_S3_T3_NS_24const_host_device_scalarIT2_EEPKT5_lPKT6_lS7_PT7_PKS4_SH_21rocsparse_index_base_b,comdat
.Lfunc_end55:
	.size	_ZN9rocsparseL17sddmm_coox_kernelILi512ELi4ELb0EfllDF16_DF16_fEEv20rocsparse_operation_S1_16rocsparse_order_S2_T4_S3_S3_T3_NS_24const_host_device_scalarIT2_EEPKT5_lPKT6_lS7_PT7_PKS4_SH_21rocsparse_index_base_b, .Lfunc_end55-_ZN9rocsparseL17sddmm_coox_kernelILi512ELi4ELb0EfllDF16_DF16_fEEv20rocsparse_operation_S1_16rocsparse_order_S2_T4_S3_S3_T3_NS_24const_host_device_scalarIT2_EEPKT5_lPKT6_lS7_PT7_PKS4_SH_21rocsparse_index_base_b
                                        ; -- End function
	.section	.AMDGPU.csdata,"",@progbits
; Kernel info:
; codeLenInByte = 1052
; NumSgprs: 32
; NumVgprs: 15
; NumAgprs: 0
; TotalNumVgprs: 15
; ScratchSize: 0
; MemoryBound: 0
; FloatMode: 240
; IeeeMode: 1
; LDSByteSize: 2048 bytes/workgroup (compile time only)
; SGPRBlocks: 3
; VGPRBlocks: 1
; NumSGPRsForWavesPerEU: 32
; NumVGPRsForWavesPerEU: 15
; AccumOffset: 16
; Occupancy: 8
; WaveLimiterHint : 0
; COMPUTE_PGM_RSRC2:SCRATCH_EN: 0
; COMPUTE_PGM_RSRC2:USER_SGPR: 6
; COMPUTE_PGM_RSRC2:TRAP_HANDLER: 0
; COMPUTE_PGM_RSRC2:TGID_X_EN: 1
; COMPUTE_PGM_RSRC2:TGID_Y_EN: 0
; COMPUTE_PGM_RSRC2:TGID_Z_EN: 0
; COMPUTE_PGM_RSRC2:TIDIG_COMP_CNT: 0
; COMPUTE_PGM_RSRC3_GFX90A:ACCUM_OFFSET: 3
; COMPUTE_PGM_RSRC3_GFX90A:TG_SPLIT: 0
	.section	.text._ZN9rocsparseL17sddmm_coox_kernelILi512ELi2ELb0EfllDF16_DF16_fEEv20rocsparse_operation_S1_16rocsparse_order_S2_T4_S3_S3_T3_NS_24const_host_device_scalarIT2_EEPKT5_lPKT6_lS7_PT7_PKS4_SH_21rocsparse_index_base_b,"axG",@progbits,_ZN9rocsparseL17sddmm_coox_kernelILi512ELi2ELb0EfllDF16_DF16_fEEv20rocsparse_operation_S1_16rocsparse_order_S2_T4_S3_S3_T3_NS_24const_host_device_scalarIT2_EEPKT5_lPKT6_lS7_PT7_PKS4_SH_21rocsparse_index_base_b,comdat
	.globl	_ZN9rocsparseL17sddmm_coox_kernelILi512ELi2ELb0EfllDF16_DF16_fEEv20rocsparse_operation_S1_16rocsparse_order_S2_T4_S3_S3_T3_NS_24const_host_device_scalarIT2_EEPKT5_lPKT6_lS7_PT7_PKS4_SH_21rocsparse_index_base_b ; -- Begin function _ZN9rocsparseL17sddmm_coox_kernelILi512ELi2ELb0EfllDF16_DF16_fEEv20rocsparse_operation_S1_16rocsparse_order_S2_T4_S3_S3_T3_NS_24const_host_device_scalarIT2_EEPKT5_lPKT6_lS7_PT7_PKS4_SH_21rocsparse_index_base_b
	.p2align	8
	.type	_ZN9rocsparseL17sddmm_coox_kernelILi512ELi2ELb0EfllDF16_DF16_fEEv20rocsparse_operation_S1_16rocsparse_order_S2_T4_S3_S3_T3_NS_24const_host_device_scalarIT2_EEPKT5_lPKT6_lS7_PT7_PKS4_SH_21rocsparse_index_base_b,@function
_ZN9rocsparseL17sddmm_coox_kernelILi512ELi2ELb0EfllDF16_DF16_fEEv20rocsparse_operation_S1_16rocsparse_order_S2_T4_S3_S3_T3_NS_24const_host_device_scalarIT2_EEPKT5_lPKT6_lS7_PT7_PKS4_SH_21rocsparse_index_base_b: ; @_ZN9rocsparseL17sddmm_coox_kernelILi512ELi2ELb0EfllDF16_DF16_fEEv20rocsparse_operation_S1_16rocsparse_order_S2_T4_S3_S3_T3_NS_24const_host_device_scalarIT2_EEPKT5_lPKT6_lS7_PT7_PKS4_SH_21rocsparse_index_base_b
; %bb.0:
	s_load_dwordx2 s[18:19], s[4:5], 0x78
	s_load_dwordx2 s[16:17], s[4:5], 0x30
	s_load_dwordx4 s[0:3], s[4:5], 0x50
	s_waitcnt lgkmcnt(0)
	s_bitcmp1_b32 s19, 0
	s_cselect_b64 s[10:11], -1, 0
	s_xor_b64 s[8:9], s[10:11], -1
	s_and_b64 vcc, exec, s[10:11]
	s_cbranch_vccnz .LBB56_2
; %bb.1:
	s_load_dword s16, s[16:17], 0x0
.LBB56_2:
	s_andn2_b64 vcc, exec, s[8:9]
	s_cbranch_vccnz .LBB56_4
; %bb.3:
	s_load_dword s2, s[2:3], 0x0
.LBB56_4:
	s_waitcnt lgkmcnt(0)
	v_cmp_eq_f32_e64 s[8:9], s16, 0
	v_cmp_eq_f32_e64 s[10:11], s2, 1.0
	s_and_b64 s[8:9], s[8:9], s[10:11]
	s_and_b64 vcc, exec, s[8:9]
	s_cbranch_vccnz .LBB56_30
; %bb.5:
	s_load_dwordx4 s[8:11], s[4:5], 0x20
	v_lshrrev_b32_e32 v10, 1, v0
	v_lshl_or_b32 v2, s6, 8, v10
	v_mov_b32_e32 v3, 0
	s_waitcnt lgkmcnt(0)
	v_cmp_gt_i64_e32 vcc, s[10:11], v[2:3]
	s_and_saveexec_b64 s[6:7], vcc
	s_cbranch_execz .LBB56_30
; %bb.6:
	s_load_dwordx4 s[12:15], s[4:5], 0x68
	v_lshlrev_b64 v[4:5], 3, v[2:3]
	s_mov_b32 s3, 0
	s_waitcnt lgkmcnt(0)
	v_mov_b32_e32 v1, s13
	v_add_co_u32_e32 v6, vcc, s12, v4
	v_addc_co_u32_e32 v7, vcc, v1, v5, vcc
	global_load_dwordx2 v[8:9], v[6:7], off
	v_mov_b32_e32 v1, s15
	v_add_co_u32_e32 v4, vcc, s14, v4
	v_addc_co_u32_e32 v5, vcc, v1, v5, vcc
	global_load_dwordx2 v[6:7], v[4:5], off
	s_load_dwordx4 s[12:15], s[4:5], 0x0
	s_load_dwordx2 s[6:7], s[4:5], 0x40
	s_waitcnt lgkmcnt(0)
	s_cmp_eq_u32 s14, 1
	s_cselect_b64 s[10:11], -1, 0
	s_cmpk_eq_i32 s12, 0x6f
	s_cselect_b64 s[20:21], -1, 0
	s_cmpk_lg_i32 s12, 0x6f
	s_cselect_b64 s[22:23], -1, 0
	s_cmp_lg_u32 s14, 1
	s_waitcnt vmcnt(1)
	v_subrev_co_u32_e32 v8, vcc, s18, v8
	v_subbrev_co_u32_e32 v9, vcc, 0, v9, vcc
	s_cbranch_scc0 .LBB56_10
; %bb.7:
	s_andn2_b64 vcc, exec, s[20:21]
	v_pk_mov_b32 v[4:5], v[8:9], v[8:9] op_sel:[0,1]
	s_cbranch_vccnz .LBB56_9
; %bb.8:
	v_mul_lo_u32 v1, v9, s6
	v_mul_lo_u32 v11, v8, s7
	v_mad_u64_u32 v[4:5], s[24:25], v8, s6, 0
	v_add3_u32 v5, v5, v11, v1
.LBB56_9:
	s_cbranch_execz .LBB56_11
	s_branch .LBB56_14
.LBB56_10:
                                        ; implicit-def: $vgpr4_vgpr5
.LBB56_11:
	s_andn2_b64 vcc, exec, s[22:23]
	s_cbranch_vccnz .LBB56_13
; %bb.12:
	v_mul_lo_u32 v1, v9, s6
	v_mul_lo_u32 v4, v8, s7
	v_mad_u64_u32 v[8:9], s[22:23], v8, s6, 0
	v_add3_u32 v9, v9, v4, v1
.LBB56_13:
	v_pk_mov_b32 v[4:5], v[8:9], v[8:9] op_sel:[0,1]
.LBB56_14:
	s_cmp_eq_u32 s15, 1
	s_cselect_b64 s[22:23], -1, 0
	s_cmpk_eq_i32 s13, 0x6f
	v_mov_b32_e32 v1, s3
	s_cselect_b64 s[24:25], -1, 0
	s_cmpk_lg_i32 s13, 0x6f
	s_waitcnt vmcnt(0)
	v_subrev_co_u32_e32 v8, vcc, s18, v6
	s_cselect_b64 s[12:13], -1, 0
	s_cmp_lg_u32 s15, 1
	v_subb_co_u32_e32 v9, vcc, v7, v1, vcc
	s_cbranch_scc0 .LBB56_18
; %bb.15:
	s_andn2_b64 vcc, exec, s[12:13]
	v_pk_mov_b32 v[6:7], v[8:9], v[8:9] op_sel:[0,1]
	s_cbranch_vccnz .LBB56_17
; %bb.16:
	v_mul_lo_u32 v1, v9, s0
	v_mul_lo_u32 v11, v8, s1
	v_mad_u64_u32 v[6:7], s[12:13], v8, s0, 0
	v_add3_u32 v7, v7, v11, v1
.LBB56_17:
	s_cbranch_execz .LBB56_19
	s_branch .LBB56_22
.LBB56_18:
                                        ; implicit-def: $vgpr6_vgpr7
.LBB56_19:
	s_andn2_b64 vcc, exec, s[24:25]
	s_cbranch_vccnz .LBB56_21
; %bb.20:
	v_mul_lo_u32 v1, v9, s0
	v_mul_lo_u32 v6, v8, s1
	v_mad_u64_u32 v[8:9], s[12:13], v8, s0, 0
	v_add3_u32 v9, v9, v6, v1
.LBB56_21:
	v_pk_mov_b32 v[6:7], v[8:9], v[8:9] op_sel:[0,1]
.LBB56_22:
	s_load_dwordx2 s[12:13], s[4:5], 0x60
	v_and_b32_e32 v0, 1, v0
	v_mov_b32_e32 v1, 0
	v_cmp_gt_i64_e32 vcc, s[8:9], v[0:1]
	s_and_saveexec_b64 s[14:15], vcc
	s_cbranch_execz .LBB56_26
; %bb.23:
	s_load_dwordx2 s[18:19], s[4:5], 0x38
	s_load_dwordx2 s[26:27], s[4:5], 0x48
	s_xor_b64 s[4:5], s[20:21], s[10:11]
	s_and_b64 s[4:5], s[4:5], exec
	s_cselect_b32 s5, 0, s7
	s_cselect_b32 s4, 1, s6
	s_xor_b64 s[6:7], s[24:25], s[22:23]
	s_and_b64 s[6:7], s[6:7], exec
	s_cselect_b32 s1, s1, 0
	s_cselect_b32 s0, s0, 1
	v_mul_lo_u32 v9, s1, v0
	v_mul_lo_u32 v8, s0, v0
	v_lshlrev_b64 v[8:9], 1, v[8:9]
	v_lshlrev_b64 v[6:7], 1, v[6:7]
	v_add_co_u32_e32 v6, vcc, v8, v6
	v_addc_co_u32_e32 v7, vcc, v9, v7, vcc
	s_waitcnt lgkmcnt(0)
	v_mov_b32_e32 v8, s27
	v_add_co_u32_e32 v6, vcc, s26, v6
	v_addc_co_u32_e32 v7, vcc, v8, v7, vcc
	v_mul_lo_u32 v9, s5, v0
	v_mul_lo_u32 v8, s4, v0
	v_lshlrev_b64 v[8:9], 1, v[8:9]
	v_lshlrev_b64 v[4:5], 1, v[4:5]
	v_add_co_u32_e32 v4, vcc, v8, v4
	v_addc_co_u32_e32 v5, vcc, v9, v5, vcc
	s_lshl_b64 s[0:1], s[0:1], 2
	v_mov_b32_e32 v8, s19
	v_add_co_u32_e32 v4, vcc, s18, v4
	s_lshl_b64 s[6:7], s[4:5], 2
	v_mov_b32_e32 v13, 0
	v_addc_co_u32_e32 v5, vcc, v8, v5, vcc
	s_mov_b64 s[4:5], 0
	v_mov_b32_e32 v11, s1
	v_mov_b32_e32 v12, s7
	v_pk_mov_b32 v[8:9], v[0:1], v[0:1] op_sel:[0,1]
	v_mov_b32_e32 v1, v13
.LBB56_24:                              ; =>This Inner Loop Header: Depth=1
	global_load_ushort v13, v[4:5], off
	global_load_ushort v14, v[6:7], off
	v_add_co_u32_e32 v8, vcc, 2, v8
	v_addc_co_u32_e32 v9, vcc, 0, v9, vcc
	v_add_co_u32_e32 v6, vcc, s0, v6
	v_addc_co_u32_e32 v7, vcc, v7, v11, vcc
	;; [unrolled: 2-line block ×3, first 2 shown]
	v_cmp_le_i64_e32 vcc, s[8:9], v[8:9]
	s_or_b64 s[4:5], vcc, s[4:5]
	s_waitcnt vmcnt(0)
	v_mul_f16_e32 v13, v13, v14
	v_cvt_f32_f16_e32 v13, v13
	v_add_f32_e32 v1, v1, v13
	s_andn2_b64 exec, exec, s[4:5]
	s_cbranch_execnz .LBB56_24
; %bb.25:
	s_or_b64 exec, exec, s[4:5]
.LBB56_26:
	s_or_b64 exec, exec, s[14:15]
	v_lshlrev_b32_e32 v4, 3, v10
	v_lshl_or_b32 v5, v0, 2, v4
	v_cmp_eq_u32_e32 vcc, 0, v0
	ds_write_b32 v5, v1
	s_waitcnt lgkmcnt(0)
	s_barrier
	s_and_saveexec_b64 s[0:1], vcc
	s_cbranch_execz .LBB56_28
; %bb.27:
	ds_read_b32 v0, v4 offset:4
	ds_read_b32 v1, v5
	s_waitcnt lgkmcnt(0)
	v_add_f32_e32 v0, v0, v1
	ds_write_b32 v5, v0
.LBB56_28:
	s_or_b64 exec, exec, s[0:1]
	s_waitcnt lgkmcnt(0)
	s_barrier
	s_and_b64 exec, exec, vcc
	s_cbranch_execz .LBB56_30
; %bb.29:
	v_lshlrev_b64 v[0:1], 2, v[2:3]
	v_mov_b32_e32 v2, s13
	v_add_co_u32_e32 v0, vcc, s12, v0
	v_addc_co_u32_e32 v1, vcc, v2, v1, vcc
	global_load_dword v2, v[0:1], off
	ds_read_b32 v3, v4
	s_waitcnt lgkmcnt(0)
	v_mul_f32_e32 v3, s16, v3
	s_waitcnt vmcnt(0)
	v_fmac_f32_e32 v3, s2, v2
	global_store_dword v[0:1], v3, off
.LBB56_30:
	s_endpgm
	.section	.rodata,"a",@progbits
	.p2align	6, 0x0
	.amdhsa_kernel _ZN9rocsparseL17sddmm_coox_kernelILi512ELi2ELb0EfllDF16_DF16_fEEv20rocsparse_operation_S1_16rocsparse_order_S2_T4_S3_S3_T3_NS_24const_host_device_scalarIT2_EEPKT5_lPKT6_lS7_PT7_PKS4_SH_21rocsparse_index_base_b
		.amdhsa_group_segment_fixed_size 2048
		.amdhsa_private_segment_fixed_size 0
		.amdhsa_kernarg_size 128
		.amdhsa_user_sgpr_count 6
		.amdhsa_user_sgpr_private_segment_buffer 1
		.amdhsa_user_sgpr_dispatch_ptr 0
		.amdhsa_user_sgpr_queue_ptr 0
		.amdhsa_user_sgpr_kernarg_segment_ptr 1
		.amdhsa_user_sgpr_dispatch_id 0
		.amdhsa_user_sgpr_flat_scratch_init 0
		.amdhsa_user_sgpr_kernarg_preload_length 0
		.amdhsa_user_sgpr_kernarg_preload_offset 0
		.amdhsa_user_sgpr_private_segment_size 0
		.amdhsa_uses_dynamic_stack 0
		.amdhsa_system_sgpr_private_segment_wavefront_offset 0
		.amdhsa_system_sgpr_workgroup_id_x 1
		.amdhsa_system_sgpr_workgroup_id_y 0
		.amdhsa_system_sgpr_workgroup_id_z 0
		.amdhsa_system_sgpr_workgroup_info 0
		.amdhsa_system_vgpr_workitem_id 0
		.amdhsa_next_free_vgpr 15
		.amdhsa_next_free_sgpr 28
		.amdhsa_accum_offset 16
		.amdhsa_reserve_vcc 1
		.amdhsa_reserve_flat_scratch 0
		.amdhsa_float_round_mode_32 0
		.amdhsa_float_round_mode_16_64 0
		.amdhsa_float_denorm_mode_32 3
		.amdhsa_float_denorm_mode_16_64 3
		.amdhsa_dx10_clamp 1
		.amdhsa_ieee_mode 1
		.amdhsa_fp16_overflow 0
		.amdhsa_tg_split 0
		.amdhsa_exception_fp_ieee_invalid_op 0
		.amdhsa_exception_fp_denorm_src 0
		.amdhsa_exception_fp_ieee_div_zero 0
		.amdhsa_exception_fp_ieee_overflow 0
		.amdhsa_exception_fp_ieee_underflow 0
		.amdhsa_exception_fp_ieee_inexact 0
		.amdhsa_exception_int_div_zero 0
	.end_amdhsa_kernel
	.section	.text._ZN9rocsparseL17sddmm_coox_kernelILi512ELi2ELb0EfllDF16_DF16_fEEv20rocsparse_operation_S1_16rocsparse_order_S2_T4_S3_S3_T3_NS_24const_host_device_scalarIT2_EEPKT5_lPKT6_lS7_PT7_PKS4_SH_21rocsparse_index_base_b,"axG",@progbits,_ZN9rocsparseL17sddmm_coox_kernelILi512ELi2ELb0EfllDF16_DF16_fEEv20rocsparse_operation_S1_16rocsparse_order_S2_T4_S3_S3_T3_NS_24const_host_device_scalarIT2_EEPKT5_lPKT6_lS7_PT7_PKS4_SH_21rocsparse_index_base_b,comdat
.Lfunc_end56:
	.size	_ZN9rocsparseL17sddmm_coox_kernelILi512ELi2ELb0EfllDF16_DF16_fEEv20rocsparse_operation_S1_16rocsparse_order_S2_T4_S3_S3_T3_NS_24const_host_device_scalarIT2_EEPKT5_lPKT6_lS7_PT7_PKS4_SH_21rocsparse_index_base_b, .Lfunc_end56-_ZN9rocsparseL17sddmm_coox_kernelILi512ELi2ELb0EfllDF16_DF16_fEEv20rocsparse_operation_S1_16rocsparse_order_S2_T4_S3_S3_T3_NS_24const_host_device_scalarIT2_EEPKT5_lPKT6_lS7_PT7_PKS4_SH_21rocsparse_index_base_b
                                        ; -- End function
	.section	.AMDGPU.csdata,"",@progbits
; Kernel info:
; codeLenInByte = 984
; NumSgprs: 32
; NumVgprs: 15
; NumAgprs: 0
; TotalNumVgprs: 15
; ScratchSize: 0
; MemoryBound: 0
; FloatMode: 240
; IeeeMode: 1
; LDSByteSize: 2048 bytes/workgroup (compile time only)
; SGPRBlocks: 3
; VGPRBlocks: 1
; NumSGPRsForWavesPerEU: 32
; NumVGPRsForWavesPerEU: 15
; AccumOffset: 16
; Occupancy: 8
; WaveLimiterHint : 0
; COMPUTE_PGM_RSRC2:SCRATCH_EN: 0
; COMPUTE_PGM_RSRC2:USER_SGPR: 6
; COMPUTE_PGM_RSRC2:TRAP_HANDLER: 0
; COMPUTE_PGM_RSRC2:TGID_X_EN: 1
; COMPUTE_PGM_RSRC2:TGID_Y_EN: 0
; COMPUTE_PGM_RSRC2:TGID_Z_EN: 0
; COMPUTE_PGM_RSRC2:TIDIG_COMP_CNT: 0
; COMPUTE_PGM_RSRC3_GFX90A:ACCUM_OFFSET: 3
; COMPUTE_PGM_RSRC3_GFX90A:TG_SPLIT: 0
	.section	.text._ZN9rocsparseL17sddmm_coox_kernelILi512ELi1ELb0EfllDF16_DF16_fEEv20rocsparse_operation_S1_16rocsparse_order_S2_T4_S3_S3_T3_NS_24const_host_device_scalarIT2_EEPKT5_lPKT6_lS7_PT7_PKS4_SH_21rocsparse_index_base_b,"axG",@progbits,_ZN9rocsparseL17sddmm_coox_kernelILi512ELi1ELb0EfllDF16_DF16_fEEv20rocsparse_operation_S1_16rocsparse_order_S2_T4_S3_S3_T3_NS_24const_host_device_scalarIT2_EEPKT5_lPKT6_lS7_PT7_PKS4_SH_21rocsparse_index_base_b,comdat
	.globl	_ZN9rocsparseL17sddmm_coox_kernelILi512ELi1ELb0EfllDF16_DF16_fEEv20rocsparse_operation_S1_16rocsparse_order_S2_T4_S3_S3_T3_NS_24const_host_device_scalarIT2_EEPKT5_lPKT6_lS7_PT7_PKS4_SH_21rocsparse_index_base_b ; -- Begin function _ZN9rocsparseL17sddmm_coox_kernelILi512ELi1ELb0EfllDF16_DF16_fEEv20rocsparse_operation_S1_16rocsparse_order_S2_T4_S3_S3_T3_NS_24const_host_device_scalarIT2_EEPKT5_lPKT6_lS7_PT7_PKS4_SH_21rocsparse_index_base_b
	.p2align	8
	.type	_ZN9rocsparseL17sddmm_coox_kernelILi512ELi1ELb0EfllDF16_DF16_fEEv20rocsparse_operation_S1_16rocsparse_order_S2_T4_S3_S3_T3_NS_24const_host_device_scalarIT2_EEPKT5_lPKT6_lS7_PT7_PKS4_SH_21rocsparse_index_base_b,@function
_ZN9rocsparseL17sddmm_coox_kernelILi512ELi1ELb0EfllDF16_DF16_fEEv20rocsparse_operation_S1_16rocsparse_order_S2_T4_S3_S3_T3_NS_24const_host_device_scalarIT2_EEPKT5_lPKT6_lS7_PT7_PKS4_SH_21rocsparse_index_base_b: ; @_ZN9rocsparseL17sddmm_coox_kernelILi512ELi1ELb0EfllDF16_DF16_fEEv20rocsparse_operation_S1_16rocsparse_order_S2_T4_S3_S3_T3_NS_24const_host_device_scalarIT2_EEPKT5_lPKT6_lS7_PT7_PKS4_SH_21rocsparse_index_base_b
; %bb.0:
	s_load_dwordx2 s[18:19], s[4:5], 0x78
	s_load_dwordx2 s[16:17], s[4:5], 0x30
	s_load_dwordx4 s[0:3], s[4:5], 0x50
	s_waitcnt lgkmcnt(0)
	s_bitcmp1_b32 s19, 0
	s_cselect_b64 s[10:11], -1, 0
	s_xor_b64 s[8:9], s[10:11], -1
	s_and_b64 vcc, exec, s[10:11]
	s_cbranch_vccnz .LBB57_2
; %bb.1:
	s_load_dword s16, s[16:17], 0x0
.LBB57_2:
	s_andn2_b64 vcc, exec, s[8:9]
	s_cbranch_vccnz .LBB57_4
; %bb.3:
	s_load_dword s2, s[2:3], 0x0
.LBB57_4:
	s_waitcnt lgkmcnt(0)
	v_cmp_eq_f32_e64 s[8:9], s16, 0
	v_cmp_eq_f32_e64 s[10:11], s2, 1.0
	s_and_b64 s[8:9], s[8:9], s[10:11]
	s_and_b64 vcc, exec, s[8:9]
	s_cbranch_vccnz .LBB57_27
; %bb.5:
	s_load_dwordx4 s[8:11], s[4:5], 0x20
	v_lshl_or_b32 v2, s6, 9, v0
	v_mov_b32_e32 v3, 0
	s_waitcnt lgkmcnt(0)
	v_cmp_gt_i64_e32 vcc, s[10:11], v[2:3]
	s_and_saveexec_b64 s[6:7], vcc
	s_cbranch_execz .LBB57_27
; %bb.6:
	s_load_dwordx4 s[12:15], s[4:5], 0x68
	v_lshlrev_b64 v[4:5], 3, v[2:3]
	s_mov_b32 s3, 0
	s_waitcnt lgkmcnt(0)
	v_mov_b32_e32 v1, s13
	v_add_co_u32_e32 v6, vcc, s12, v4
	v_addc_co_u32_e32 v7, vcc, v1, v5, vcc
	global_load_dwordx2 v[8:9], v[6:7], off
	v_mov_b32_e32 v1, s15
	v_add_co_u32_e32 v4, vcc, s14, v4
	v_addc_co_u32_e32 v5, vcc, v1, v5, vcc
	global_load_dwordx2 v[6:7], v[4:5], off
	s_load_dwordx4 s[12:15], s[4:5], 0x0
	s_load_dwordx2 s[6:7], s[4:5], 0x40
	s_waitcnt lgkmcnt(0)
	s_cmp_eq_u32 s14, 1
	s_cselect_b64 s[10:11], -1, 0
	s_cmpk_eq_i32 s12, 0x6f
	s_cselect_b64 s[20:21], -1, 0
	s_cmpk_lg_i32 s12, 0x6f
	s_cselect_b64 s[22:23], -1, 0
	s_cmp_lg_u32 s14, 1
	s_waitcnt vmcnt(1)
	v_subrev_co_u32_e32 v8, vcc, s18, v8
	v_subbrev_co_u32_e32 v9, vcc, 0, v9, vcc
	s_cbranch_scc0 .LBB57_10
; %bb.7:
	s_andn2_b64 vcc, exec, s[20:21]
	v_pk_mov_b32 v[4:5], v[8:9], v[8:9] op_sel:[0,1]
	s_cbranch_vccnz .LBB57_9
; %bb.8:
	v_mul_lo_u32 v1, v9, s6
	v_mul_lo_u32 v10, v8, s7
	v_mad_u64_u32 v[4:5], s[24:25], v8, s6, 0
	v_add3_u32 v5, v5, v10, v1
.LBB57_9:
	s_cbranch_execz .LBB57_11
	s_branch .LBB57_14
.LBB57_10:
                                        ; implicit-def: $vgpr4_vgpr5
.LBB57_11:
	s_andn2_b64 vcc, exec, s[22:23]
	s_cbranch_vccnz .LBB57_13
; %bb.12:
	v_mul_lo_u32 v1, v9, s6
	v_mul_lo_u32 v4, v8, s7
	v_mad_u64_u32 v[8:9], s[22:23], v8, s6, 0
	v_add3_u32 v9, v9, v4, v1
.LBB57_13:
	v_pk_mov_b32 v[4:5], v[8:9], v[8:9] op_sel:[0,1]
.LBB57_14:
	s_cmp_eq_u32 s15, 1
	s_cselect_b64 s[22:23], -1, 0
	s_cmpk_eq_i32 s13, 0x6f
	v_mov_b32_e32 v1, s3
	s_cselect_b64 s[24:25], -1, 0
	s_cmpk_lg_i32 s13, 0x6f
	s_waitcnt vmcnt(0)
	v_subrev_co_u32_e32 v6, vcc, s18, v6
	s_cselect_b64 s[12:13], -1, 0
	s_cmp_lg_u32 s15, 1
	v_subb_co_u32_e32 v7, vcc, v7, v1, vcc
	s_cbranch_scc0 .LBB57_21
; %bb.15:
	s_andn2_b64 vcc, exec, s[12:13]
	v_pk_mov_b32 v[8:9], v[6:7], v[6:7] op_sel:[0,1]
	s_cbranch_vccnz .LBB57_17
; %bb.16:
	v_mul_lo_u32 v1, v7, s0
	v_mul_lo_u32 v10, v6, s1
	v_mad_u64_u32 v[8:9], s[12:13], v6, s0, 0
	v_add3_u32 v9, v9, v10, v1
.LBB57_17:
	s_cbranch_execz .LBB57_22
; %bb.18:
	s_load_dwordx2 s[12:13], s[4:5], 0x60
	v_cmp_lt_i64_e64 s[14:15], s[8:9], 1
	s_and_b64 vcc, exec, s[14:15]
	s_cbranch_vccnz .LBB57_25
.LBB57_19:
	s_load_dwordx2 s[14:15], s[4:5], 0x48
	s_load_dwordx2 s[18:19], s[4:5], 0x38
	s_xor_b64 s[4:5], s[20:21], s[10:11]
	s_and_b64 s[4:5], s[4:5], exec
	v_lshlrev_b64 v[6:7], 1, v[8:9]
	s_cselect_b32 s5, 0, s7
	s_cselect_b32 s4, 1, s6
	s_xor_b64 s[6:7], s[24:25], s[22:23]
	s_waitcnt lgkmcnt(0)
	v_mov_b32_e32 v1, s15
	v_add_co_u32_e32 v6, vcc, s14, v6
	s_and_b64 s[6:7], s[6:7], exec
	v_addc_co_u32_e32 v7, vcc, v1, v7, vcc
	v_lshlrev_b64 v[4:5], 1, v[4:5]
	s_cselect_b32 s1, s1, 0
	s_cselect_b32 s0, s0, 1
	v_mov_b32_e32 v1, s19
	v_add_co_u32_e32 v4, vcc, s18, v4
	s_lshl_b64 s[0:1], s[0:1], 1
	s_lshl_b64 s[4:5], s[4:5], 1
	v_addc_co_u32_e32 v5, vcc, v1, v5, vcc
	v_mov_b32_e32 v1, 0
	v_mov_b32_e32 v8, s1
	;; [unrolled: 1-line block ×3, first 2 shown]
.LBB57_20:                              ; =>This Inner Loop Header: Depth=1
	global_load_ushort v10, v[4:5], off
	global_load_ushort v11, v[6:7], off
	v_add_co_u32_e32 v6, vcc, s0, v6
	s_add_u32 s8, s8, -1
	v_addc_co_u32_e32 v7, vcc, v7, v8, vcc
	v_add_co_u32_e32 v4, vcc, s4, v4
	s_addc_u32 s9, s9, -1
	v_addc_co_u32_e32 v5, vcc, v5, v9, vcc
	s_cmp_eq_u64 s[8:9], 0
	s_waitcnt vmcnt(0)
	v_mul_f16_e32 v10, v10, v11
	v_cvt_f32_f16_e32 v10, v10
	v_add_f32_e32 v1, v1, v10
	s_cbranch_scc0 .LBB57_20
	s_branch .LBB57_26
.LBB57_21:
                                        ; implicit-def: $vgpr8_vgpr9
.LBB57_22:
	s_andn2_b64 vcc, exec, s[24:25]
	s_cbranch_vccnz .LBB57_24
; %bb.23:
	v_mul_lo_u32 v1, v7, s0
	v_mul_lo_u32 v8, v6, s1
	v_mad_u64_u32 v[6:7], s[12:13], v6, s0, 0
	v_add3_u32 v7, v7, v8, v1
.LBB57_24:
	v_pk_mov_b32 v[8:9], v[6:7], v[6:7] op_sel:[0,1]
	s_load_dwordx2 s[12:13], s[4:5], 0x60
	v_cmp_lt_i64_e64 s[14:15], s[8:9], 1
	s_and_b64 vcc, exec, s[14:15]
	s_cbranch_vccz .LBB57_19
.LBB57_25:
	v_mov_b32_e32 v1, 0
.LBB57_26:
	v_lshlrev_b32_e32 v4, 2, v0
	ds_write_b32 v4, v1
	v_lshlrev_b64 v[0:1], 2, v[2:3]
	s_waitcnt lgkmcnt(0)
	v_mov_b32_e32 v2, s13
	v_add_co_u32_e32 v0, vcc, s12, v0
	v_addc_co_u32_e32 v1, vcc, v2, v1, vcc
	s_barrier
	global_load_dword v2, v[0:1], off
	ds_read_b32 v3, v4
	s_waitcnt lgkmcnt(0)
	v_mul_f32_e32 v3, s16, v3
	s_waitcnt vmcnt(0)
	v_fmac_f32_e32 v3, s2, v2
	global_store_dword v[0:1], v3, off
.LBB57_27:
	s_endpgm
	.section	.rodata,"a",@progbits
	.p2align	6, 0x0
	.amdhsa_kernel _ZN9rocsparseL17sddmm_coox_kernelILi512ELi1ELb0EfllDF16_DF16_fEEv20rocsparse_operation_S1_16rocsparse_order_S2_T4_S3_S3_T3_NS_24const_host_device_scalarIT2_EEPKT5_lPKT6_lS7_PT7_PKS4_SH_21rocsparse_index_base_b
		.amdhsa_group_segment_fixed_size 2048
		.amdhsa_private_segment_fixed_size 0
		.amdhsa_kernarg_size 128
		.amdhsa_user_sgpr_count 6
		.amdhsa_user_sgpr_private_segment_buffer 1
		.amdhsa_user_sgpr_dispatch_ptr 0
		.amdhsa_user_sgpr_queue_ptr 0
		.amdhsa_user_sgpr_kernarg_segment_ptr 1
		.amdhsa_user_sgpr_dispatch_id 0
		.amdhsa_user_sgpr_flat_scratch_init 0
		.amdhsa_user_sgpr_kernarg_preload_length 0
		.amdhsa_user_sgpr_kernarg_preload_offset 0
		.amdhsa_user_sgpr_private_segment_size 0
		.amdhsa_uses_dynamic_stack 0
		.amdhsa_system_sgpr_private_segment_wavefront_offset 0
		.amdhsa_system_sgpr_workgroup_id_x 1
		.amdhsa_system_sgpr_workgroup_id_y 0
		.amdhsa_system_sgpr_workgroup_id_z 0
		.amdhsa_system_sgpr_workgroup_info 0
		.amdhsa_system_vgpr_workitem_id 0
		.amdhsa_next_free_vgpr 12
		.amdhsa_next_free_sgpr 26
		.amdhsa_accum_offset 12
		.amdhsa_reserve_vcc 1
		.amdhsa_reserve_flat_scratch 0
		.amdhsa_float_round_mode_32 0
		.amdhsa_float_round_mode_16_64 0
		.amdhsa_float_denorm_mode_32 3
		.amdhsa_float_denorm_mode_16_64 3
		.amdhsa_dx10_clamp 1
		.amdhsa_ieee_mode 1
		.amdhsa_fp16_overflow 0
		.amdhsa_tg_split 0
		.amdhsa_exception_fp_ieee_invalid_op 0
		.amdhsa_exception_fp_denorm_src 0
		.amdhsa_exception_fp_ieee_div_zero 0
		.amdhsa_exception_fp_ieee_overflow 0
		.amdhsa_exception_fp_ieee_underflow 0
		.amdhsa_exception_fp_ieee_inexact 0
		.amdhsa_exception_int_div_zero 0
	.end_amdhsa_kernel
	.section	.text._ZN9rocsparseL17sddmm_coox_kernelILi512ELi1ELb0EfllDF16_DF16_fEEv20rocsparse_operation_S1_16rocsparse_order_S2_T4_S3_S3_T3_NS_24const_host_device_scalarIT2_EEPKT5_lPKT6_lS7_PT7_PKS4_SH_21rocsparse_index_base_b,"axG",@progbits,_ZN9rocsparseL17sddmm_coox_kernelILi512ELi1ELb0EfllDF16_DF16_fEEv20rocsparse_operation_S1_16rocsparse_order_S2_T4_S3_S3_T3_NS_24const_host_device_scalarIT2_EEPKT5_lPKT6_lS7_PT7_PKS4_SH_21rocsparse_index_base_b,comdat
.Lfunc_end57:
	.size	_ZN9rocsparseL17sddmm_coox_kernelILi512ELi1ELb0EfllDF16_DF16_fEEv20rocsparse_operation_S1_16rocsparse_order_S2_T4_S3_S3_T3_NS_24const_host_device_scalarIT2_EEPKT5_lPKT6_lS7_PT7_PKS4_SH_21rocsparse_index_base_b, .Lfunc_end57-_ZN9rocsparseL17sddmm_coox_kernelILi512ELi1ELb0EfllDF16_DF16_fEEv20rocsparse_operation_S1_16rocsparse_order_S2_T4_S3_S3_T3_NS_24const_host_device_scalarIT2_EEPKT5_lPKT6_lS7_PT7_PKS4_SH_21rocsparse_index_base_b
                                        ; -- End function
	.section	.AMDGPU.csdata,"",@progbits
; Kernel info:
; codeLenInByte = 836
; NumSgprs: 30
; NumVgprs: 12
; NumAgprs: 0
; TotalNumVgprs: 12
; ScratchSize: 0
; MemoryBound: 0
; FloatMode: 240
; IeeeMode: 1
; LDSByteSize: 2048 bytes/workgroup (compile time only)
; SGPRBlocks: 3
; VGPRBlocks: 1
; NumSGPRsForWavesPerEU: 30
; NumVGPRsForWavesPerEU: 12
; AccumOffset: 12
; Occupancy: 8
; WaveLimiterHint : 0
; COMPUTE_PGM_RSRC2:SCRATCH_EN: 0
; COMPUTE_PGM_RSRC2:USER_SGPR: 6
; COMPUTE_PGM_RSRC2:TRAP_HANDLER: 0
; COMPUTE_PGM_RSRC2:TGID_X_EN: 1
; COMPUTE_PGM_RSRC2:TGID_Y_EN: 0
; COMPUTE_PGM_RSRC2:TGID_Z_EN: 0
; COMPUTE_PGM_RSRC2:TIDIG_COMP_CNT: 0
; COMPUTE_PGM_RSRC3_GFX90A:ACCUM_OFFSET: 2
; COMPUTE_PGM_RSRC3_GFX90A:TG_SPLIT: 0
	.text
	.p2alignl 6, 3212836864
	.fill 256, 4, 3212836864
	.type	__hip_cuid_88fa45c20cd713b4,@object ; @__hip_cuid_88fa45c20cd713b4
	.section	.bss,"aw",@nobits
	.globl	__hip_cuid_88fa45c20cd713b4
__hip_cuid_88fa45c20cd713b4:
	.byte	0                               ; 0x0
	.size	__hip_cuid_88fa45c20cd713b4, 1

	.ident	"AMD clang version 19.0.0git (https://github.com/RadeonOpenCompute/llvm-project roc-6.4.0 25133 c7fe45cf4b819c5991fe208aaa96edf142730f1d)"
	.section	".note.GNU-stack","",@progbits
	.addrsig
	.addrsig_sym __hip_cuid_88fa45c20cd713b4
	.amdgpu_metadata
---
amdhsa.kernels:
  - .agpr_count:     0
    .args:
      - .offset:         0
        .size:           4
        .value_kind:     by_value
      - .offset:         4
        .size:           4
        .value_kind:     by_value
      - .offset:         8
        .size:           4
        .value_kind:     by_value
      - .actual_access:  read_only
        .address_space:  global
        .offset:         16
        .size:           8
        .value_kind:     global_buffer
      - .offset:         24
        .size:           4
        .value_kind:     by_value
      - .actual_access:  write_only
        .address_space:  global
        .offset:         32
        .size:           8
        .value_kind:     global_buffer
      - .actual_access:  read_only
        .address_space:  global
        .offset:         40
        .size:           8
        .value_kind:     global_buffer
      - .actual_access:  read_only
        .address_space:  global
        .offset:         48
        .size:           8
        .value_kind:     global_buffer
      - .offset:         56
        .size:           4
        .value_kind:     by_value
      - .offset:         64
        .size:           4
        .value_kind:     hidden_block_count_x
      - .offset:         68
        .size:           4
        .value_kind:     hidden_block_count_y
      - .offset:         72
        .size:           4
        .value_kind:     hidden_block_count_z
      - .offset:         76
        .size:           2
        .value_kind:     hidden_group_size_x
      - .offset:         78
        .size:           2
        .value_kind:     hidden_group_size_y
      - .offset:         80
        .size:           2
        .value_kind:     hidden_group_size_z
      - .offset:         82
        .size:           2
        .value_kind:     hidden_remainder_x
      - .offset:         84
        .size:           2
        .value_kind:     hidden_remainder_y
      - .offset:         86
        .size:           2
        .value_kind:     hidden_remainder_z
      - .offset:         104
        .size:           8
        .value_kind:     hidden_global_offset_x
      - .offset:         112
        .size:           8
        .value_kind:     hidden_global_offset_y
      - .offset:         120
        .size:           8
        .value_kind:     hidden_global_offset_z
      - .offset:         128
        .size:           2
        .value_kind:     hidden_grid_dims
    .group_segment_fixed_size: 0
    .kernarg_segment_align: 8
    .kernarg_segment_size: 320
    .language:       OpenCL C
    .language_version:
      - 2
      - 0
    .max_flat_workgroup_size: 512
    .name:           _ZN9rocsparseL24sddmm_coox_sample_kernelILi512ELb0EDF16_iiDF16_EEvT3_S1_T2_PKT4_S1_PS3_PKS2_S8_21rocsparse_index_base_
    .private_segment_fixed_size: 0
    .sgpr_count:     20
    .sgpr_spill_count: 0
    .symbol:         _ZN9rocsparseL24sddmm_coox_sample_kernelILi512ELb0EDF16_iiDF16_EEvT3_S1_T2_PKT4_S1_PS3_PKS2_S8_21rocsparse_index_base_.kd
    .uniform_work_group_size: 1
    .uses_dynamic_stack: false
    .vgpr_count:     12
    .vgpr_spill_count: 0
    .wavefront_size: 64
  - .agpr_count:     0
    .args:
      - .offset:         0
        .size:           4
        .value_kind:     by_value
      - .offset:         4
        .size:           4
        .value_kind:     by_value
      - .offset:         8
        .size:           4
        .value_kind:     by_value
      - .offset:         12
        .size:           4
        .value_kind:     by_value
      - .offset:         16
        .size:           4
        .value_kind:     by_value
      - .offset:         20
        .size:           4
        .value_kind:     by_value
      - .offset:         24
        .size:           4
        .value_kind:     by_value
      - .offset:         28
        .size:           4
        .value_kind:     by_value
      - .offset:         32
        .size:           8
        .value_kind:     by_value
      - .actual_access:  read_only
        .address_space:  global
        .offset:         40
        .size:           8
        .value_kind:     global_buffer
      - .offset:         48
        .size:           8
        .value_kind:     by_value
      - .actual_access:  read_only
        .address_space:  global
        .offset:         56
        .size:           8
        .value_kind:     global_buffer
      - .offset:         64
        .size:           8
        .value_kind:     by_value
      - .offset:         72
        .size:           8
        .value_kind:     by_value
      - .address_space:  global
        .offset:         80
        .size:           8
        .value_kind:     global_buffer
      - .actual_access:  read_only
        .address_space:  global
        .offset:         88
        .size:           8
        .value_kind:     global_buffer
      - .actual_access:  read_only
        .address_space:  global
        .offset:         96
        .size:           8
        .value_kind:     global_buffer
      - .offset:         104
        .size:           4
        .value_kind:     by_value
      - .offset:         108
        .size:           1
        .value_kind:     by_value
    .group_segment_fixed_size: 1024
    .kernarg_segment_align: 8
    .kernarg_segment_size: 112
    .language:       OpenCL C
    .language_version:
      - 2
      - 0
    .max_flat_workgroup_size: 512
    .name:           _ZN9rocsparseL17sddmm_coox_kernelILi512ELi8ELb0EDF16_iiDF16_DF16_DF16_EEv20rocsparse_operation_S1_16rocsparse_order_S2_T4_S3_S3_T3_NS_24const_host_device_scalarIT2_EEPKT5_lPKT6_lS7_PT7_PKS4_SH_21rocsparse_index_base_b
    .private_segment_fixed_size: 0
    .sgpr_count:     28
    .sgpr_spill_count: 0
    .symbol:         _ZN9rocsparseL17sddmm_coox_kernelILi512ELi8ELb0EDF16_iiDF16_DF16_DF16_EEv20rocsparse_operation_S1_16rocsparse_order_S2_T4_S3_S3_T3_NS_24const_host_device_scalarIT2_EEPKT5_lPKT6_lS7_PT7_PKS4_SH_21rocsparse_index_base_b.kd
    .uniform_work_group_size: 1
    .uses_dynamic_stack: false
    .vgpr_count:     18
    .vgpr_spill_count: 0
    .wavefront_size: 64
  - .agpr_count:     0
    .args:
      - .offset:         0
        .size:           4
        .value_kind:     by_value
      - .offset:         4
        .size:           4
        .value_kind:     by_value
      - .offset:         8
        .size:           4
        .value_kind:     by_value
      - .offset:         12
        .size:           4
        .value_kind:     by_value
      - .offset:         16
        .size:           4
        .value_kind:     by_value
      - .offset:         20
        .size:           4
        .value_kind:     by_value
      - .offset:         24
        .size:           4
        .value_kind:     by_value
      - .offset:         28
        .size:           4
        .value_kind:     by_value
      - .offset:         32
        .size:           8
        .value_kind:     by_value
      - .actual_access:  read_only
        .address_space:  global
        .offset:         40
        .size:           8
        .value_kind:     global_buffer
      - .offset:         48
        .size:           8
        .value_kind:     by_value
      - .actual_access:  read_only
        .address_space:  global
        .offset:         56
        .size:           8
        .value_kind:     global_buffer
      - .offset:         64
        .size:           8
        .value_kind:     by_value
      - .offset:         72
        .size:           8
        .value_kind:     by_value
      - .address_space:  global
        .offset:         80
        .size:           8
        .value_kind:     global_buffer
      - .actual_access:  read_only
        .address_space:  global
        .offset:         88
        .size:           8
        .value_kind:     global_buffer
      - .actual_access:  read_only
        .address_space:  global
        .offset:         96
        .size:           8
        .value_kind:     global_buffer
      - .offset:         104
        .size:           4
        .value_kind:     by_value
      - .offset:         108
        .size:           1
        .value_kind:     by_value
    .group_segment_fixed_size: 1024
    .kernarg_segment_align: 8
    .kernarg_segment_size: 112
    .language:       OpenCL C
    .language_version:
      - 2
      - 0
    .max_flat_workgroup_size: 512
    .name:           _ZN9rocsparseL17sddmm_coox_kernelILi512ELi4ELb0EDF16_iiDF16_DF16_DF16_EEv20rocsparse_operation_S1_16rocsparse_order_S2_T4_S3_S3_T3_NS_24const_host_device_scalarIT2_EEPKT5_lPKT6_lS7_PT7_PKS4_SH_21rocsparse_index_base_b
    .private_segment_fixed_size: 0
    .sgpr_count:     28
    .sgpr_spill_count: 0
    .symbol:         _ZN9rocsparseL17sddmm_coox_kernelILi512ELi4ELb0EDF16_iiDF16_DF16_DF16_EEv20rocsparse_operation_S1_16rocsparse_order_S2_T4_S3_S3_T3_NS_24const_host_device_scalarIT2_EEPKT5_lPKT6_lS7_PT7_PKS4_SH_21rocsparse_index_base_b.kd
    .uniform_work_group_size: 1
    .uses_dynamic_stack: false
    .vgpr_count:     18
    .vgpr_spill_count: 0
    .wavefront_size: 64
  - .agpr_count:     0
    .args:
      - .offset:         0
        .size:           4
        .value_kind:     by_value
      - .offset:         4
        .size:           4
        .value_kind:     by_value
      - .offset:         8
        .size:           4
        .value_kind:     by_value
      - .offset:         12
        .size:           4
        .value_kind:     by_value
      - .offset:         16
        .size:           4
        .value_kind:     by_value
      - .offset:         20
        .size:           4
        .value_kind:     by_value
      - .offset:         24
        .size:           4
        .value_kind:     by_value
      - .offset:         28
        .size:           4
        .value_kind:     by_value
      - .offset:         32
        .size:           8
        .value_kind:     by_value
      - .actual_access:  read_only
        .address_space:  global
        .offset:         40
        .size:           8
        .value_kind:     global_buffer
      - .offset:         48
        .size:           8
        .value_kind:     by_value
      - .actual_access:  read_only
        .address_space:  global
        .offset:         56
        .size:           8
        .value_kind:     global_buffer
      - .offset:         64
        .size:           8
        .value_kind:     by_value
      - .offset:         72
        .size:           8
        .value_kind:     by_value
      - .address_space:  global
        .offset:         80
        .size:           8
        .value_kind:     global_buffer
      - .actual_access:  read_only
        .address_space:  global
        .offset:         88
        .size:           8
        .value_kind:     global_buffer
      - .actual_access:  read_only
        .address_space:  global
        .offset:         96
        .size:           8
        .value_kind:     global_buffer
      - .offset:         104
        .size:           4
        .value_kind:     by_value
      - .offset:         108
        .size:           1
        .value_kind:     by_value
    .group_segment_fixed_size: 1024
    .kernarg_segment_align: 8
    .kernarg_segment_size: 112
    .language:       OpenCL C
    .language_version:
      - 2
      - 0
    .max_flat_workgroup_size: 512
    .name:           _ZN9rocsparseL17sddmm_coox_kernelILi512ELi2ELb0EDF16_iiDF16_DF16_DF16_EEv20rocsparse_operation_S1_16rocsparse_order_S2_T4_S3_S3_T3_NS_24const_host_device_scalarIT2_EEPKT5_lPKT6_lS7_PT7_PKS4_SH_21rocsparse_index_base_b
    .private_segment_fixed_size: 0
    .sgpr_count:     28
    .sgpr_spill_count: 0
    .symbol:         _ZN9rocsparseL17sddmm_coox_kernelILi512ELi2ELb0EDF16_iiDF16_DF16_DF16_EEv20rocsparse_operation_S1_16rocsparse_order_S2_T4_S3_S3_T3_NS_24const_host_device_scalarIT2_EEPKT5_lPKT6_lS7_PT7_PKS4_SH_21rocsparse_index_base_b.kd
    .uniform_work_group_size: 1
    .uses_dynamic_stack: false
    .vgpr_count:     18
    .vgpr_spill_count: 0
    .wavefront_size: 64
  - .agpr_count:     0
    .args:
      - .offset:         0
        .size:           4
        .value_kind:     by_value
      - .offset:         4
        .size:           4
        .value_kind:     by_value
      - .offset:         8
        .size:           4
        .value_kind:     by_value
      - .offset:         12
        .size:           4
        .value_kind:     by_value
      - .offset:         16
        .size:           4
        .value_kind:     by_value
      - .offset:         20
        .size:           4
        .value_kind:     by_value
      - .offset:         24
        .size:           4
        .value_kind:     by_value
      - .offset:         28
        .size:           4
        .value_kind:     by_value
      - .offset:         32
        .size:           8
        .value_kind:     by_value
      - .actual_access:  read_only
        .address_space:  global
        .offset:         40
        .size:           8
        .value_kind:     global_buffer
      - .offset:         48
        .size:           8
        .value_kind:     by_value
      - .actual_access:  read_only
        .address_space:  global
        .offset:         56
        .size:           8
        .value_kind:     global_buffer
      - .offset:         64
        .size:           8
        .value_kind:     by_value
      - .offset:         72
        .size:           8
        .value_kind:     by_value
      - .address_space:  global
        .offset:         80
        .size:           8
        .value_kind:     global_buffer
      - .actual_access:  read_only
        .address_space:  global
        .offset:         88
        .size:           8
        .value_kind:     global_buffer
      - .actual_access:  read_only
        .address_space:  global
        .offset:         96
        .size:           8
        .value_kind:     global_buffer
      - .offset:         104
        .size:           4
        .value_kind:     by_value
      - .offset:         108
        .size:           1
        .value_kind:     by_value
    .group_segment_fixed_size: 1024
    .kernarg_segment_align: 8
    .kernarg_segment_size: 112
    .language:       OpenCL C
    .language_version:
      - 2
      - 0
    .max_flat_workgroup_size: 512
    .name:           _ZN9rocsparseL17sddmm_coox_kernelILi512ELi1ELb0EDF16_iiDF16_DF16_DF16_EEv20rocsparse_operation_S1_16rocsparse_order_S2_T4_S3_S3_T3_NS_24const_host_device_scalarIT2_EEPKT5_lPKT6_lS7_PT7_PKS4_SH_21rocsparse_index_base_b
    .private_segment_fixed_size: 0
    .sgpr_count:     26
    .sgpr_spill_count: 0
    .symbol:         _ZN9rocsparseL17sddmm_coox_kernelILi512ELi1ELb0EDF16_iiDF16_DF16_DF16_EEv20rocsparse_operation_S1_16rocsparse_order_S2_T4_S3_S3_T3_NS_24const_host_device_scalarIT2_EEPKT5_lPKT6_lS7_PT7_PKS4_SH_21rocsparse_index_base_b.kd
    .uniform_work_group_size: 1
    .uses_dynamic_stack: false
    .vgpr_count:     14
    .vgpr_spill_count: 0
    .wavefront_size: 64
  - .agpr_count:     0
    .args:
      - .offset:         0
        .size:           4
        .value_kind:     by_value
      - .offset:         4
        .size:           4
        .value_kind:     by_value
      - .offset:         8
        .size:           4
        .value_kind:     by_value
      - .actual_access:  read_only
        .address_space:  global
        .offset:         16
        .size:           8
        .value_kind:     global_buffer
      - .offset:         24
        .size:           4
        .value_kind:     by_value
      - .actual_access:  write_only
        .address_space:  global
        .offset:         32
        .size:           8
        .value_kind:     global_buffer
      - .actual_access:  read_only
        .address_space:  global
        .offset:         40
        .size:           8
        .value_kind:     global_buffer
      - .actual_access:  read_only
        .address_space:  global
        .offset:         48
        .size:           8
        .value_kind:     global_buffer
      - .offset:         56
        .size:           4
        .value_kind:     by_value
      - .offset:         64
        .size:           4
        .value_kind:     hidden_block_count_x
      - .offset:         68
        .size:           4
        .value_kind:     hidden_block_count_y
      - .offset:         72
        .size:           4
        .value_kind:     hidden_block_count_z
      - .offset:         76
        .size:           2
        .value_kind:     hidden_group_size_x
      - .offset:         78
        .size:           2
        .value_kind:     hidden_group_size_y
      - .offset:         80
        .size:           2
        .value_kind:     hidden_group_size_z
      - .offset:         82
        .size:           2
        .value_kind:     hidden_remainder_x
      - .offset:         84
        .size:           2
        .value_kind:     hidden_remainder_y
      - .offset:         86
        .size:           2
        .value_kind:     hidden_remainder_z
      - .offset:         104
        .size:           8
        .value_kind:     hidden_global_offset_x
      - .offset:         112
        .size:           8
        .value_kind:     hidden_global_offset_y
      - .offset:         120
        .size:           8
        .value_kind:     hidden_global_offset_z
      - .offset:         128
        .size:           2
        .value_kind:     hidden_grid_dims
    .group_segment_fixed_size: 0
    .kernarg_segment_align: 8
    .kernarg_segment_size: 320
    .language:       OpenCL C
    .language_version:
      - 2
      - 0
    .max_flat_workgroup_size: 512
    .name:           _ZN9rocsparseL24sddmm_coox_sample_kernelILi512ELb0EfiifEEvT3_S1_T2_PKT4_S1_PS3_PKS2_S8_21rocsparse_index_base_
    .private_segment_fixed_size: 0
    .sgpr_count:     20
    .sgpr_spill_count: 0
    .symbol:         _ZN9rocsparseL24sddmm_coox_sample_kernelILi512ELb0EfiifEEvT3_S1_T2_PKT4_S1_PS3_PKS2_S8_21rocsparse_index_base_.kd
    .uniform_work_group_size: 1
    .uses_dynamic_stack: false
    .vgpr_count:     14
    .vgpr_spill_count: 0
    .wavefront_size: 64
  - .agpr_count:     0
    .args:
      - .offset:         0
        .size:           4
        .value_kind:     by_value
      - .offset:         4
        .size:           4
        .value_kind:     by_value
      - .offset:         8
        .size:           4
        .value_kind:     by_value
      - .offset:         12
        .size:           4
        .value_kind:     by_value
      - .offset:         16
        .size:           4
        .value_kind:     by_value
      - .offset:         20
        .size:           4
        .value_kind:     by_value
      - .offset:         24
        .size:           4
        .value_kind:     by_value
      - .offset:         28
        .size:           4
        .value_kind:     by_value
      - .offset:         32
        .size:           8
        .value_kind:     by_value
      - .actual_access:  read_only
        .address_space:  global
        .offset:         40
        .size:           8
        .value_kind:     global_buffer
      - .offset:         48
        .size:           8
        .value_kind:     by_value
      - .actual_access:  read_only
        .address_space:  global
        .offset:         56
        .size:           8
        .value_kind:     global_buffer
      - .offset:         64
        .size:           8
        .value_kind:     by_value
      - .offset:         72
        .size:           8
        .value_kind:     by_value
      - .address_space:  global
        .offset:         80
        .size:           8
        .value_kind:     global_buffer
      - .actual_access:  read_only
        .address_space:  global
        .offset:         88
        .size:           8
        .value_kind:     global_buffer
      - .actual_access:  read_only
        .address_space:  global
        .offset:         96
        .size:           8
        .value_kind:     global_buffer
      - .offset:         104
        .size:           4
        .value_kind:     by_value
      - .offset:         108
        .size:           1
        .value_kind:     by_value
    .group_segment_fixed_size: 2048
    .kernarg_segment_align: 8
    .kernarg_segment_size: 112
    .language:       OpenCL C
    .language_version:
      - 2
      - 0
    .max_flat_workgroup_size: 512
    .name:           _ZN9rocsparseL17sddmm_coox_kernelILi512ELi8ELb0EfiifffEEv20rocsparse_operation_S1_16rocsparse_order_S2_T4_S3_S3_T3_NS_24const_host_device_scalarIT2_EEPKT5_lPKT6_lS7_PT7_PKS4_SH_21rocsparse_index_base_b
    .private_segment_fixed_size: 0
    .sgpr_count:     32
    .sgpr_spill_count: 0
    .symbol:         _ZN9rocsparseL17sddmm_coox_kernelILi512ELi8ELb0EfiifffEEv20rocsparse_operation_S1_16rocsparse_order_S2_T4_S3_S3_T3_NS_24const_host_device_scalarIT2_EEPKT5_lPKT6_lS7_PT7_PKS4_SH_21rocsparse_index_base_b.kd
    .uniform_work_group_size: 1
    .uses_dynamic_stack: false
    .vgpr_count:     16
    .vgpr_spill_count: 0
    .wavefront_size: 64
  - .agpr_count:     0
    .args:
      - .offset:         0
        .size:           4
        .value_kind:     by_value
      - .offset:         4
        .size:           4
        .value_kind:     by_value
      - .offset:         8
        .size:           4
        .value_kind:     by_value
      - .offset:         12
        .size:           4
        .value_kind:     by_value
      - .offset:         16
        .size:           4
        .value_kind:     by_value
      - .offset:         20
        .size:           4
        .value_kind:     by_value
      - .offset:         24
        .size:           4
        .value_kind:     by_value
      - .offset:         28
        .size:           4
        .value_kind:     by_value
      - .offset:         32
        .size:           8
        .value_kind:     by_value
      - .actual_access:  read_only
        .address_space:  global
        .offset:         40
        .size:           8
        .value_kind:     global_buffer
      - .offset:         48
        .size:           8
        .value_kind:     by_value
      - .actual_access:  read_only
        .address_space:  global
        .offset:         56
        .size:           8
        .value_kind:     global_buffer
      - .offset:         64
        .size:           8
        .value_kind:     by_value
      - .offset:         72
        .size:           8
        .value_kind:     by_value
      - .address_space:  global
        .offset:         80
        .size:           8
        .value_kind:     global_buffer
      - .actual_access:  read_only
        .address_space:  global
        .offset:         88
        .size:           8
        .value_kind:     global_buffer
      - .actual_access:  read_only
        .address_space:  global
        .offset:         96
        .size:           8
        .value_kind:     global_buffer
      - .offset:         104
        .size:           4
        .value_kind:     by_value
      - .offset:         108
        .size:           1
        .value_kind:     by_value
    .group_segment_fixed_size: 2048
    .kernarg_segment_align: 8
    .kernarg_segment_size: 112
    .language:       OpenCL C
    .language_version:
      - 2
      - 0
    .max_flat_workgroup_size: 512
    .name:           _ZN9rocsparseL17sddmm_coox_kernelILi512ELi4ELb0EfiifffEEv20rocsparse_operation_S1_16rocsparse_order_S2_T4_S3_S3_T3_NS_24const_host_device_scalarIT2_EEPKT5_lPKT6_lS7_PT7_PKS4_SH_21rocsparse_index_base_b
    .private_segment_fixed_size: 0
    .sgpr_count:     32
    .sgpr_spill_count: 0
    .symbol:         _ZN9rocsparseL17sddmm_coox_kernelILi512ELi4ELb0EfiifffEEv20rocsparse_operation_S1_16rocsparse_order_S2_T4_S3_S3_T3_NS_24const_host_device_scalarIT2_EEPKT5_lPKT6_lS7_PT7_PKS4_SH_21rocsparse_index_base_b.kd
    .uniform_work_group_size: 1
    .uses_dynamic_stack: false
    .vgpr_count:     16
    .vgpr_spill_count: 0
    .wavefront_size: 64
  - .agpr_count:     0
    .args:
      - .offset:         0
        .size:           4
        .value_kind:     by_value
      - .offset:         4
        .size:           4
        .value_kind:     by_value
      - .offset:         8
        .size:           4
        .value_kind:     by_value
      - .offset:         12
        .size:           4
        .value_kind:     by_value
      - .offset:         16
        .size:           4
        .value_kind:     by_value
      - .offset:         20
        .size:           4
        .value_kind:     by_value
      - .offset:         24
        .size:           4
        .value_kind:     by_value
      - .offset:         28
        .size:           4
        .value_kind:     by_value
      - .offset:         32
        .size:           8
        .value_kind:     by_value
      - .actual_access:  read_only
        .address_space:  global
        .offset:         40
        .size:           8
        .value_kind:     global_buffer
      - .offset:         48
        .size:           8
        .value_kind:     by_value
      - .actual_access:  read_only
        .address_space:  global
        .offset:         56
        .size:           8
        .value_kind:     global_buffer
      - .offset:         64
        .size:           8
        .value_kind:     by_value
      - .offset:         72
        .size:           8
        .value_kind:     by_value
      - .address_space:  global
        .offset:         80
        .size:           8
        .value_kind:     global_buffer
      - .actual_access:  read_only
        .address_space:  global
        .offset:         88
        .size:           8
        .value_kind:     global_buffer
      - .actual_access:  read_only
        .address_space:  global
        .offset:         96
        .size:           8
        .value_kind:     global_buffer
      - .offset:         104
        .size:           4
        .value_kind:     by_value
      - .offset:         108
        .size:           1
        .value_kind:     by_value
    .group_segment_fixed_size: 2048
    .kernarg_segment_align: 8
    .kernarg_segment_size: 112
    .language:       OpenCL C
    .language_version:
      - 2
      - 0
    .max_flat_workgroup_size: 512
    .name:           _ZN9rocsparseL17sddmm_coox_kernelILi512ELi2ELb0EfiifffEEv20rocsparse_operation_S1_16rocsparse_order_S2_T4_S3_S3_T3_NS_24const_host_device_scalarIT2_EEPKT5_lPKT6_lS7_PT7_PKS4_SH_21rocsparse_index_base_b
    .private_segment_fixed_size: 0
    .sgpr_count:     32
    .sgpr_spill_count: 0
    .symbol:         _ZN9rocsparseL17sddmm_coox_kernelILi512ELi2ELb0EfiifffEEv20rocsparse_operation_S1_16rocsparse_order_S2_T4_S3_S3_T3_NS_24const_host_device_scalarIT2_EEPKT5_lPKT6_lS7_PT7_PKS4_SH_21rocsparse_index_base_b.kd
    .uniform_work_group_size: 1
    .uses_dynamic_stack: false
    .vgpr_count:     16
    .vgpr_spill_count: 0
    .wavefront_size: 64
  - .agpr_count:     0
    .args:
      - .offset:         0
        .size:           4
        .value_kind:     by_value
      - .offset:         4
        .size:           4
        .value_kind:     by_value
      - .offset:         8
        .size:           4
        .value_kind:     by_value
      - .offset:         12
        .size:           4
        .value_kind:     by_value
      - .offset:         16
        .size:           4
        .value_kind:     by_value
      - .offset:         20
        .size:           4
        .value_kind:     by_value
      - .offset:         24
        .size:           4
        .value_kind:     by_value
      - .offset:         28
        .size:           4
        .value_kind:     by_value
      - .offset:         32
        .size:           8
        .value_kind:     by_value
      - .actual_access:  read_only
        .address_space:  global
        .offset:         40
        .size:           8
        .value_kind:     global_buffer
      - .offset:         48
        .size:           8
        .value_kind:     by_value
      - .actual_access:  read_only
        .address_space:  global
        .offset:         56
        .size:           8
        .value_kind:     global_buffer
      - .offset:         64
        .size:           8
        .value_kind:     by_value
      - .offset:         72
        .size:           8
        .value_kind:     by_value
      - .address_space:  global
        .offset:         80
        .size:           8
        .value_kind:     global_buffer
      - .actual_access:  read_only
        .address_space:  global
        .offset:         88
        .size:           8
        .value_kind:     global_buffer
      - .actual_access:  read_only
        .address_space:  global
        .offset:         96
        .size:           8
        .value_kind:     global_buffer
      - .offset:         104
        .size:           4
        .value_kind:     by_value
      - .offset:         108
        .size:           1
        .value_kind:     by_value
    .group_segment_fixed_size: 2048
    .kernarg_segment_align: 8
    .kernarg_segment_size: 112
    .language:       OpenCL C
    .language_version:
      - 2
      - 0
    .max_flat_workgroup_size: 512
    .name:           _ZN9rocsparseL17sddmm_coox_kernelILi512ELi1ELb0EfiifffEEv20rocsparse_operation_S1_16rocsparse_order_S2_T4_S3_S3_T3_NS_24const_host_device_scalarIT2_EEPKT5_lPKT6_lS7_PT7_PKS4_SH_21rocsparse_index_base_b
    .private_segment_fixed_size: 0
    .sgpr_count:     30
    .sgpr_spill_count: 0
    .symbol:         _ZN9rocsparseL17sddmm_coox_kernelILi512ELi1ELb0EfiifffEEv20rocsparse_operation_S1_16rocsparse_order_S2_T4_S3_S3_T3_NS_24const_host_device_scalarIT2_EEPKT5_lPKT6_lS7_PT7_PKS4_SH_21rocsparse_index_base_b.kd
    .uniform_work_group_size: 1
    .uses_dynamic_stack: false
    .vgpr_count:     12
    .vgpr_spill_count: 0
    .wavefront_size: 64
  - .agpr_count:     0
    .args:
      - .offset:         0
        .size:           4
        .value_kind:     by_value
      - .offset:         4
        .size:           4
        .value_kind:     by_value
      - .offset:         8
        .size:           4
        .value_kind:     by_value
      - .actual_access:  read_only
        .address_space:  global
        .offset:         16
        .size:           8
        .value_kind:     global_buffer
      - .offset:         24
        .size:           4
        .value_kind:     by_value
      - .actual_access:  write_only
        .address_space:  global
        .offset:         32
        .size:           8
        .value_kind:     global_buffer
      - .actual_access:  read_only
        .address_space:  global
        .offset:         40
        .size:           8
        .value_kind:     global_buffer
      - .actual_access:  read_only
        .address_space:  global
        .offset:         48
        .size:           8
        .value_kind:     global_buffer
      - .offset:         56
        .size:           4
        .value_kind:     by_value
      - .offset:         64
        .size:           4
        .value_kind:     hidden_block_count_x
      - .offset:         68
        .size:           4
        .value_kind:     hidden_block_count_y
      - .offset:         72
        .size:           4
        .value_kind:     hidden_block_count_z
      - .offset:         76
        .size:           2
        .value_kind:     hidden_group_size_x
      - .offset:         78
        .size:           2
        .value_kind:     hidden_group_size_y
      - .offset:         80
        .size:           2
        .value_kind:     hidden_group_size_z
      - .offset:         82
        .size:           2
        .value_kind:     hidden_remainder_x
      - .offset:         84
        .size:           2
        .value_kind:     hidden_remainder_y
      - .offset:         86
        .size:           2
        .value_kind:     hidden_remainder_z
      - .offset:         104
        .size:           8
        .value_kind:     hidden_global_offset_x
      - .offset:         112
        .size:           8
        .value_kind:     hidden_global_offset_y
      - .offset:         120
        .size:           8
        .value_kind:     hidden_global_offset_z
      - .offset:         128
        .size:           2
        .value_kind:     hidden_grid_dims
    .group_segment_fixed_size: 0
    .kernarg_segment_align: 8
    .kernarg_segment_size: 320
    .language:       OpenCL C
    .language_version:
      - 2
      - 0
    .max_flat_workgroup_size: 512
    .name:           _ZN9rocsparseL24sddmm_coox_sample_kernelILi512ELb0EdiidEEvT3_S1_T2_PKT4_S1_PS3_PKS2_S8_21rocsparse_index_base_
    .private_segment_fixed_size: 0
    .sgpr_count:     20
    .sgpr_spill_count: 0
    .symbol:         _ZN9rocsparseL24sddmm_coox_sample_kernelILi512ELb0EdiidEEvT3_S1_T2_PKT4_S1_PS3_PKS2_S8_21rocsparse_index_base_.kd
    .uniform_work_group_size: 1
    .uses_dynamic_stack: false
    .vgpr_count:     12
    .vgpr_spill_count: 0
    .wavefront_size: 64
  - .agpr_count:     0
    .args:
      - .offset:         0
        .size:           4
        .value_kind:     by_value
      - .offset:         4
        .size:           4
        .value_kind:     by_value
      - .offset:         8
        .size:           4
        .value_kind:     by_value
      - .offset:         12
        .size:           4
        .value_kind:     by_value
      - .offset:         16
        .size:           4
        .value_kind:     by_value
      - .offset:         20
        .size:           4
        .value_kind:     by_value
      - .offset:         24
        .size:           4
        .value_kind:     by_value
      - .offset:         28
        .size:           4
        .value_kind:     by_value
      - .offset:         32
        .size:           8
        .value_kind:     by_value
      - .actual_access:  read_only
        .address_space:  global
        .offset:         40
        .size:           8
        .value_kind:     global_buffer
      - .offset:         48
        .size:           8
        .value_kind:     by_value
      - .actual_access:  read_only
        .address_space:  global
        .offset:         56
        .size:           8
        .value_kind:     global_buffer
      - .offset:         64
        .size:           8
        .value_kind:     by_value
      - .offset:         72
        .size:           8
        .value_kind:     by_value
      - .address_space:  global
        .offset:         80
        .size:           8
        .value_kind:     global_buffer
      - .actual_access:  read_only
        .address_space:  global
        .offset:         88
        .size:           8
        .value_kind:     global_buffer
      - .actual_access:  read_only
        .address_space:  global
        .offset:         96
        .size:           8
        .value_kind:     global_buffer
      - .offset:         104
        .size:           4
        .value_kind:     by_value
      - .offset:         108
        .size:           1
        .value_kind:     by_value
    .group_segment_fixed_size: 4096
    .kernarg_segment_align: 8
    .kernarg_segment_size: 112
    .language:       OpenCL C
    .language_version:
      - 2
      - 0
    .max_flat_workgroup_size: 512
    .name:           _ZN9rocsparseL17sddmm_coox_kernelILi512ELi8ELb0EdiidddEEv20rocsparse_operation_S1_16rocsparse_order_S2_T4_S3_S3_T3_NS_24const_host_device_scalarIT2_EEPKT5_lPKT6_lS7_PT7_PKS4_SH_21rocsparse_index_base_b
    .private_segment_fixed_size: 0
    .sgpr_count:     28
    .sgpr_spill_count: 0
    .symbol:         _ZN9rocsparseL17sddmm_coox_kernelILi512ELi8ELb0EdiidddEEv20rocsparse_operation_S1_16rocsparse_order_S2_T4_S3_S3_T3_NS_24const_host_device_scalarIT2_EEPKT5_lPKT6_lS7_PT7_PKS4_SH_21rocsparse_index_base_b.kd
    .uniform_work_group_size: 1
    .uses_dynamic_stack: false
    .vgpr_count:     24
    .vgpr_spill_count: 0
    .wavefront_size: 64
  - .agpr_count:     0
    .args:
      - .offset:         0
        .size:           4
        .value_kind:     by_value
      - .offset:         4
        .size:           4
        .value_kind:     by_value
      - .offset:         8
        .size:           4
        .value_kind:     by_value
      - .offset:         12
        .size:           4
        .value_kind:     by_value
      - .offset:         16
        .size:           4
        .value_kind:     by_value
      - .offset:         20
        .size:           4
        .value_kind:     by_value
      - .offset:         24
        .size:           4
        .value_kind:     by_value
      - .offset:         28
        .size:           4
        .value_kind:     by_value
      - .offset:         32
        .size:           8
        .value_kind:     by_value
      - .actual_access:  read_only
        .address_space:  global
        .offset:         40
        .size:           8
        .value_kind:     global_buffer
      - .offset:         48
        .size:           8
        .value_kind:     by_value
      - .actual_access:  read_only
        .address_space:  global
        .offset:         56
        .size:           8
        .value_kind:     global_buffer
      - .offset:         64
        .size:           8
        .value_kind:     by_value
      - .offset:         72
        .size:           8
        .value_kind:     by_value
      - .address_space:  global
        .offset:         80
        .size:           8
        .value_kind:     global_buffer
      - .actual_access:  read_only
        .address_space:  global
        .offset:         88
        .size:           8
        .value_kind:     global_buffer
      - .actual_access:  read_only
        .address_space:  global
        .offset:         96
        .size:           8
        .value_kind:     global_buffer
      - .offset:         104
        .size:           4
        .value_kind:     by_value
      - .offset:         108
        .size:           1
        .value_kind:     by_value
    .group_segment_fixed_size: 4096
    .kernarg_segment_align: 8
    .kernarg_segment_size: 112
    .language:       OpenCL C
    .language_version:
      - 2
      - 0
    .max_flat_workgroup_size: 512
    .name:           _ZN9rocsparseL17sddmm_coox_kernelILi512ELi4ELb0EdiidddEEv20rocsparse_operation_S1_16rocsparse_order_S2_T4_S3_S3_T3_NS_24const_host_device_scalarIT2_EEPKT5_lPKT6_lS7_PT7_PKS4_SH_21rocsparse_index_base_b
    .private_segment_fixed_size: 0
    .sgpr_count:     28
    .sgpr_spill_count: 0
    .symbol:         _ZN9rocsparseL17sddmm_coox_kernelILi512ELi4ELb0EdiidddEEv20rocsparse_operation_S1_16rocsparse_order_S2_T4_S3_S3_T3_NS_24const_host_device_scalarIT2_EEPKT5_lPKT6_lS7_PT7_PKS4_SH_21rocsparse_index_base_b.kd
    .uniform_work_group_size: 1
    .uses_dynamic_stack: false
    .vgpr_count:     24
    .vgpr_spill_count: 0
    .wavefront_size: 64
  - .agpr_count:     0
    .args:
      - .offset:         0
        .size:           4
        .value_kind:     by_value
      - .offset:         4
        .size:           4
        .value_kind:     by_value
      - .offset:         8
        .size:           4
        .value_kind:     by_value
      - .offset:         12
        .size:           4
        .value_kind:     by_value
      - .offset:         16
        .size:           4
        .value_kind:     by_value
      - .offset:         20
        .size:           4
        .value_kind:     by_value
      - .offset:         24
        .size:           4
        .value_kind:     by_value
      - .offset:         28
        .size:           4
        .value_kind:     by_value
      - .offset:         32
        .size:           8
        .value_kind:     by_value
      - .actual_access:  read_only
        .address_space:  global
        .offset:         40
        .size:           8
        .value_kind:     global_buffer
      - .offset:         48
        .size:           8
        .value_kind:     by_value
      - .actual_access:  read_only
        .address_space:  global
        .offset:         56
        .size:           8
        .value_kind:     global_buffer
      - .offset:         64
        .size:           8
        .value_kind:     by_value
      - .offset:         72
        .size:           8
        .value_kind:     by_value
      - .address_space:  global
        .offset:         80
        .size:           8
        .value_kind:     global_buffer
      - .actual_access:  read_only
        .address_space:  global
        .offset:         88
        .size:           8
        .value_kind:     global_buffer
      - .actual_access:  read_only
        .address_space:  global
        .offset:         96
        .size:           8
        .value_kind:     global_buffer
      - .offset:         104
        .size:           4
        .value_kind:     by_value
      - .offset:         108
        .size:           1
        .value_kind:     by_value
    .group_segment_fixed_size: 4096
    .kernarg_segment_align: 8
    .kernarg_segment_size: 112
    .language:       OpenCL C
    .language_version:
      - 2
      - 0
    .max_flat_workgroup_size: 512
    .name:           _ZN9rocsparseL17sddmm_coox_kernelILi512ELi2ELb0EdiidddEEv20rocsparse_operation_S1_16rocsparse_order_S2_T4_S3_S3_T3_NS_24const_host_device_scalarIT2_EEPKT5_lPKT6_lS7_PT7_PKS4_SH_21rocsparse_index_base_b
    .private_segment_fixed_size: 0
    .sgpr_count:     28
    .sgpr_spill_count: 0
    .symbol:         _ZN9rocsparseL17sddmm_coox_kernelILi512ELi2ELb0EdiidddEEv20rocsparse_operation_S1_16rocsparse_order_S2_T4_S3_S3_T3_NS_24const_host_device_scalarIT2_EEPKT5_lPKT6_lS7_PT7_PKS4_SH_21rocsparse_index_base_b.kd
    .uniform_work_group_size: 1
    .uses_dynamic_stack: false
    .vgpr_count:     24
    .vgpr_spill_count: 0
    .wavefront_size: 64
  - .agpr_count:     0
    .args:
      - .offset:         0
        .size:           4
        .value_kind:     by_value
      - .offset:         4
        .size:           4
        .value_kind:     by_value
      - .offset:         8
        .size:           4
        .value_kind:     by_value
      - .offset:         12
        .size:           4
        .value_kind:     by_value
      - .offset:         16
        .size:           4
        .value_kind:     by_value
      - .offset:         20
        .size:           4
        .value_kind:     by_value
      - .offset:         24
        .size:           4
        .value_kind:     by_value
      - .offset:         28
        .size:           4
        .value_kind:     by_value
      - .offset:         32
        .size:           8
        .value_kind:     by_value
      - .actual_access:  read_only
        .address_space:  global
        .offset:         40
        .size:           8
        .value_kind:     global_buffer
      - .offset:         48
        .size:           8
        .value_kind:     by_value
      - .actual_access:  read_only
        .address_space:  global
        .offset:         56
        .size:           8
        .value_kind:     global_buffer
      - .offset:         64
        .size:           8
        .value_kind:     by_value
      - .offset:         72
        .size:           8
        .value_kind:     by_value
      - .address_space:  global
        .offset:         80
        .size:           8
        .value_kind:     global_buffer
      - .actual_access:  read_only
        .address_space:  global
        .offset:         88
        .size:           8
        .value_kind:     global_buffer
      - .actual_access:  read_only
        .address_space:  global
        .offset:         96
        .size:           8
        .value_kind:     global_buffer
      - .offset:         104
        .size:           4
        .value_kind:     by_value
      - .offset:         108
        .size:           1
        .value_kind:     by_value
    .group_segment_fixed_size: 4096
    .kernarg_segment_align: 8
    .kernarg_segment_size: 112
    .language:       OpenCL C
    .language_version:
      - 2
      - 0
    .max_flat_workgroup_size: 512
    .name:           _ZN9rocsparseL17sddmm_coox_kernelILi512ELi1ELb0EdiidddEEv20rocsparse_operation_S1_16rocsparse_order_S2_T4_S3_S3_T3_NS_24const_host_device_scalarIT2_EEPKT5_lPKT6_lS7_PT7_PKS4_SH_21rocsparse_index_base_b
    .private_segment_fixed_size: 0
    .sgpr_count:     26
    .sgpr_spill_count: 0
    .symbol:         _ZN9rocsparseL17sddmm_coox_kernelILi512ELi1ELb0EdiidddEEv20rocsparse_operation_S1_16rocsparse_order_S2_T4_S3_S3_T3_NS_24const_host_device_scalarIT2_EEPKT5_lPKT6_lS7_PT7_PKS4_SH_21rocsparse_index_base_b.kd
    .uniform_work_group_size: 1
    .uses_dynamic_stack: false
    .vgpr_count:     20
    .vgpr_spill_count: 0
    .wavefront_size: 64
  - .agpr_count:     0
    .args:
      - .offset:         0
        .size:           4
        .value_kind:     by_value
      - .offset:         4
        .size:           4
        .value_kind:     by_value
      - .offset:         8
        .size:           4
        .value_kind:     by_value
      - .actual_access:  read_only
        .address_space:  global
        .offset:         16
        .size:           8
        .value_kind:     global_buffer
      - .offset:         24
        .size:           4
        .value_kind:     by_value
      - .actual_access:  write_only
        .address_space:  global
        .offset:         32
        .size:           8
        .value_kind:     global_buffer
      - .actual_access:  read_only
        .address_space:  global
        .offset:         40
        .size:           8
        .value_kind:     global_buffer
      - .actual_access:  read_only
        .address_space:  global
        .offset:         48
        .size:           8
        .value_kind:     global_buffer
      - .offset:         56
        .size:           4
        .value_kind:     by_value
      - .offset:         64
        .size:           4
        .value_kind:     hidden_block_count_x
      - .offset:         68
        .size:           4
        .value_kind:     hidden_block_count_y
      - .offset:         72
        .size:           4
        .value_kind:     hidden_block_count_z
      - .offset:         76
        .size:           2
        .value_kind:     hidden_group_size_x
      - .offset:         78
        .size:           2
        .value_kind:     hidden_group_size_y
      - .offset:         80
        .size:           2
        .value_kind:     hidden_group_size_z
      - .offset:         82
        .size:           2
        .value_kind:     hidden_remainder_x
      - .offset:         84
        .size:           2
        .value_kind:     hidden_remainder_y
      - .offset:         86
        .size:           2
        .value_kind:     hidden_remainder_z
      - .offset:         104
        .size:           8
        .value_kind:     hidden_global_offset_x
      - .offset:         112
        .size:           8
        .value_kind:     hidden_global_offset_y
      - .offset:         120
        .size:           8
        .value_kind:     hidden_global_offset_z
      - .offset:         128
        .size:           2
        .value_kind:     hidden_grid_dims
    .group_segment_fixed_size: 0
    .kernarg_segment_align: 8
    .kernarg_segment_size: 320
    .language:       OpenCL C
    .language_version:
      - 2
      - 0
    .max_flat_workgroup_size: 512
    .name:           _ZN9rocsparseL24sddmm_coox_sample_kernelILi512ELb0E21rocsparse_complex_numIfEiiS2_EEvT3_S3_T2_PKT4_S3_PS5_PKS4_SA_21rocsparse_index_base_
    .private_segment_fixed_size: 0
    .sgpr_count:     20
    .sgpr_spill_count: 0
    .symbol:         _ZN9rocsparseL24sddmm_coox_sample_kernelILi512ELb0E21rocsparse_complex_numIfEiiS2_EEvT3_S3_T2_PKT4_S3_PS5_PKS4_SA_21rocsparse_index_base_.kd
    .uniform_work_group_size: 1
    .uses_dynamic_stack: false
    .vgpr_count:     12
    .vgpr_spill_count: 0
    .wavefront_size: 64
  - .agpr_count:     0
    .args:
      - .offset:         0
        .size:           4
        .value_kind:     by_value
      - .offset:         4
        .size:           4
        .value_kind:     by_value
      - .offset:         8
        .size:           4
        .value_kind:     by_value
      - .offset:         12
        .size:           4
        .value_kind:     by_value
      - .offset:         16
        .size:           4
        .value_kind:     by_value
      - .offset:         20
        .size:           4
        .value_kind:     by_value
      - .offset:         24
        .size:           4
        .value_kind:     by_value
      - .offset:         28
        .size:           4
        .value_kind:     by_value
      - .offset:         32
        .size:           8
        .value_kind:     by_value
      - .actual_access:  read_only
        .address_space:  global
        .offset:         40
        .size:           8
        .value_kind:     global_buffer
      - .offset:         48
        .size:           8
        .value_kind:     by_value
      - .actual_access:  read_only
        .address_space:  global
        .offset:         56
        .size:           8
        .value_kind:     global_buffer
      - .offset:         64
        .size:           8
        .value_kind:     by_value
      - .offset:         72
        .size:           8
        .value_kind:     by_value
      - .address_space:  global
        .offset:         80
        .size:           8
        .value_kind:     global_buffer
      - .actual_access:  read_only
        .address_space:  global
        .offset:         88
        .size:           8
        .value_kind:     global_buffer
      - .actual_access:  read_only
        .address_space:  global
        .offset:         96
        .size:           8
        .value_kind:     global_buffer
      - .offset:         104
        .size:           4
        .value_kind:     by_value
      - .offset:         108
        .size:           1
        .value_kind:     by_value
    .group_segment_fixed_size: 4096
    .kernarg_segment_align: 8
    .kernarg_segment_size: 112
    .language:       OpenCL C
    .language_version:
      - 2
      - 0
    .max_flat_workgroup_size: 512
    .name:           _ZN9rocsparseL17sddmm_coox_kernelILi512ELi8ELb0E21rocsparse_complex_numIfEiiS2_S2_S2_EEv20rocsparse_operation_S3_16rocsparse_order_S4_T4_S5_S5_T3_NS_24const_host_device_scalarIT2_EEPKT5_lPKT6_lS9_PT7_PKS6_SJ_21rocsparse_index_base_b
    .private_segment_fixed_size: 0
    .sgpr_count:     28
    .sgpr_spill_count: 0
    .symbol:         _ZN9rocsparseL17sddmm_coox_kernelILi512ELi8ELb0E21rocsparse_complex_numIfEiiS2_S2_S2_EEv20rocsparse_operation_S3_16rocsparse_order_S4_T4_S5_S5_T3_NS_24const_host_device_scalarIT2_EEPKT5_lPKT6_lS9_PT7_PKS6_SJ_21rocsparse_index_base_b.kd
    .uniform_work_group_size: 1
    .uses_dynamic_stack: false
    .vgpr_count:     28
    .vgpr_spill_count: 0
    .wavefront_size: 64
  - .agpr_count:     0
    .args:
      - .offset:         0
        .size:           4
        .value_kind:     by_value
      - .offset:         4
        .size:           4
        .value_kind:     by_value
      - .offset:         8
        .size:           4
        .value_kind:     by_value
      - .offset:         12
        .size:           4
        .value_kind:     by_value
      - .offset:         16
        .size:           4
        .value_kind:     by_value
      - .offset:         20
        .size:           4
        .value_kind:     by_value
      - .offset:         24
        .size:           4
        .value_kind:     by_value
      - .offset:         28
        .size:           4
        .value_kind:     by_value
      - .offset:         32
        .size:           8
        .value_kind:     by_value
      - .actual_access:  read_only
        .address_space:  global
        .offset:         40
        .size:           8
        .value_kind:     global_buffer
      - .offset:         48
        .size:           8
        .value_kind:     by_value
      - .actual_access:  read_only
        .address_space:  global
        .offset:         56
        .size:           8
        .value_kind:     global_buffer
      - .offset:         64
        .size:           8
        .value_kind:     by_value
      - .offset:         72
        .size:           8
        .value_kind:     by_value
      - .address_space:  global
        .offset:         80
        .size:           8
        .value_kind:     global_buffer
      - .actual_access:  read_only
        .address_space:  global
        .offset:         88
        .size:           8
        .value_kind:     global_buffer
      - .actual_access:  read_only
        .address_space:  global
        .offset:         96
        .size:           8
        .value_kind:     global_buffer
      - .offset:         104
        .size:           4
        .value_kind:     by_value
      - .offset:         108
        .size:           1
        .value_kind:     by_value
    .group_segment_fixed_size: 4096
    .kernarg_segment_align: 8
    .kernarg_segment_size: 112
    .language:       OpenCL C
    .language_version:
      - 2
      - 0
    .max_flat_workgroup_size: 512
    .name:           _ZN9rocsparseL17sddmm_coox_kernelILi512ELi4ELb0E21rocsparse_complex_numIfEiiS2_S2_S2_EEv20rocsparse_operation_S3_16rocsparse_order_S4_T4_S5_S5_T3_NS_24const_host_device_scalarIT2_EEPKT5_lPKT6_lS9_PT7_PKS6_SJ_21rocsparse_index_base_b
    .private_segment_fixed_size: 0
    .sgpr_count:     28
    .sgpr_spill_count: 0
    .symbol:         _ZN9rocsparseL17sddmm_coox_kernelILi512ELi4ELb0E21rocsparse_complex_numIfEiiS2_S2_S2_EEv20rocsparse_operation_S3_16rocsparse_order_S4_T4_S5_S5_T3_NS_24const_host_device_scalarIT2_EEPKT5_lPKT6_lS9_PT7_PKS6_SJ_21rocsparse_index_base_b.kd
    .uniform_work_group_size: 1
    .uses_dynamic_stack: false
    .vgpr_count:     28
    .vgpr_spill_count: 0
    .wavefront_size: 64
  - .agpr_count:     0
    .args:
      - .offset:         0
        .size:           4
        .value_kind:     by_value
      - .offset:         4
        .size:           4
        .value_kind:     by_value
      - .offset:         8
        .size:           4
        .value_kind:     by_value
      - .offset:         12
        .size:           4
        .value_kind:     by_value
      - .offset:         16
        .size:           4
        .value_kind:     by_value
      - .offset:         20
        .size:           4
        .value_kind:     by_value
      - .offset:         24
        .size:           4
        .value_kind:     by_value
      - .offset:         28
        .size:           4
        .value_kind:     by_value
      - .offset:         32
        .size:           8
        .value_kind:     by_value
      - .actual_access:  read_only
        .address_space:  global
        .offset:         40
        .size:           8
        .value_kind:     global_buffer
      - .offset:         48
        .size:           8
        .value_kind:     by_value
      - .actual_access:  read_only
        .address_space:  global
        .offset:         56
        .size:           8
        .value_kind:     global_buffer
      - .offset:         64
        .size:           8
        .value_kind:     by_value
      - .offset:         72
        .size:           8
        .value_kind:     by_value
      - .address_space:  global
        .offset:         80
        .size:           8
        .value_kind:     global_buffer
      - .actual_access:  read_only
        .address_space:  global
        .offset:         88
        .size:           8
        .value_kind:     global_buffer
      - .actual_access:  read_only
        .address_space:  global
        .offset:         96
        .size:           8
        .value_kind:     global_buffer
      - .offset:         104
        .size:           4
        .value_kind:     by_value
      - .offset:         108
        .size:           1
        .value_kind:     by_value
    .group_segment_fixed_size: 4096
    .kernarg_segment_align: 8
    .kernarg_segment_size: 112
    .language:       OpenCL C
    .language_version:
      - 2
      - 0
    .max_flat_workgroup_size: 512
    .name:           _ZN9rocsparseL17sddmm_coox_kernelILi512ELi2ELb0E21rocsparse_complex_numIfEiiS2_S2_S2_EEv20rocsparse_operation_S3_16rocsparse_order_S4_T4_S5_S5_T3_NS_24const_host_device_scalarIT2_EEPKT5_lPKT6_lS9_PT7_PKS6_SJ_21rocsparse_index_base_b
    .private_segment_fixed_size: 0
    .sgpr_count:     28
    .sgpr_spill_count: 0
    .symbol:         _ZN9rocsparseL17sddmm_coox_kernelILi512ELi2ELb0E21rocsparse_complex_numIfEiiS2_S2_S2_EEv20rocsparse_operation_S3_16rocsparse_order_S4_T4_S5_S5_T3_NS_24const_host_device_scalarIT2_EEPKT5_lPKT6_lS9_PT7_PKS6_SJ_21rocsparse_index_base_b.kd
    .uniform_work_group_size: 1
    .uses_dynamic_stack: false
    .vgpr_count:     28
    .vgpr_spill_count: 0
    .wavefront_size: 64
  - .agpr_count:     0
    .args:
      - .offset:         0
        .size:           4
        .value_kind:     by_value
      - .offset:         4
        .size:           4
        .value_kind:     by_value
      - .offset:         8
        .size:           4
        .value_kind:     by_value
      - .offset:         12
        .size:           4
        .value_kind:     by_value
      - .offset:         16
        .size:           4
        .value_kind:     by_value
      - .offset:         20
        .size:           4
        .value_kind:     by_value
      - .offset:         24
        .size:           4
        .value_kind:     by_value
      - .offset:         28
        .size:           4
        .value_kind:     by_value
      - .offset:         32
        .size:           8
        .value_kind:     by_value
      - .actual_access:  read_only
        .address_space:  global
        .offset:         40
        .size:           8
        .value_kind:     global_buffer
      - .offset:         48
        .size:           8
        .value_kind:     by_value
      - .actual_access:  read_only
        .address_space:  global
        .offset:         56
        .size:           8
        .value_kind:     global_buffer
      - .offset:         64
        .size:           8
        .value_kind:     by_value
      - .offset:         72
        .size:           8
        .value_kind:     by_value
      - .address_space:  global
        .offset:         80
        .size:           8
        .value_kind:     global_buffer
      - .actual_access:  read_only
        .address_space:  global
        .offset:         88
        .size:           8
        .value_kind:     global_buffer
      - .actual_access:  read_only
        .address_space:  global
        .offset:         96
        .size:           8
        .value_kind:     global_buffer
      - .offset:         104
        .size:           4
        .value_kind:     by_value
      - .offset:         108
        .size:           1
        .value_kind:     by_value
    .group_segment_fixed_size: 4096
    .kernarg_segment_align: 8
    .kernarg_segment_size: 112
    .language:       OpenCL C
    .language_version:
      - 2
      - 0
    .max_flat_workgroup_size: 512
    .name:           _ZN9rocsparseL17sddmm_coox_kernelILi512ELi1ELb0E21rocsparse_complex_numIfEiiS2_S2_S2_EEv20rocsparse_operation_S3_16rocsparse_order_S4_T4_S5_S5_T3_NS_24const_host_device_scalarIT2_EEPKT5_lPKT6_lS9_PT7_PKS6_SJ_21rocsparse_index_base_b
    .private_segment_fixed_size: 0
    .sgpr_count:     26
    .sgpr_spill_count: 0
    .symbol:         _ZN9rocsparseL17sddmm_coox_kernelILi512ELi1ELb0E21rocsparse_complex_numIfEiiS2_S2_S2_EEv20rocsparse_operation_S3_16rocsparse_order_S4_T4_S5_S5_T3_NS_24const_host_device_scalarIT2_EEPKT5_lPKT6_lS9_PT7_PKS6_SJ_21rocsparse_index_base_b.kd
    .uniform_work_group_size: 1
    .uses_dynamic_stack: false
    .vgpr_count:     22
    .vgpr_spill_count: 0
    .wavefront_size: 64
  - .agpr_count:     0
    .args:
      - .offset:         0
        .size:           4
        .value_kind:     by_value
      - .offset:         4
        .size:           4
        .value_kind:     by_value
      - .offset:         8
        .size:           4
        .value_kind:     by_value
      - .actual_access:  read_only
        .address_space:  global
        .offset:         16
        .size:           8
        .value_kind:     global_buffer
      - .offset:         24
        .size:           4
        .value_kind:     by_value
      - .actual_access:  write_only
        .address_space:  global
        .offset:         32
        .size:           8
        .value_kind:     global_buffer
      - .actual_access:  read_only
        .address_space:  global
        .offset:         40
        .size:           8
        .value_kind:     global_buffer
      - .actual_access:  read_only
        .address_space:  global
        .offset:         48
        .size:           8
        .value_kind:     global_buffer
      - .offset:         56
        .size:           4
        .value_kind:     by_value
      - .offset:         64
        .size:           4
        .value_kind:     hidden_block_count_x
      - .offset:         68
        .size:           4
        .value_kind:     hidden_block_count_y
      - .offset:         72
        .size:           4
        .value_kind:     hidden_block_count_z
      - .offset:         76
        .size:           2
        .value_kind:     hidden_group_size_x
      - .offset:         78
        .size:           2
        .value_kind:     hidden_group_size_y
      - .offset:         80
        .size:           2
        .value_kind:     hidden_group_size_z
      - .offset:         82
        .size:           2
        .value_kind:     hidden_remainder_x
      - .offset:         84
        .size:           2
        .value_kind:     hidden_remainder_y
      - .offset:         86
        .size:           2
        .value_kind:     hidden_remainder_z
      - .offset:         104
        .size:           8
        .value_kind:     hidden_global_offset_x
      - .offset:         112
        .size:           8
        .value_kind:     hidden_global_offset_y
      - .offset:         120
        .size:           8
        .value_kind:     hidden_global_offset_z
      - .offset:         128
        .size:           2
        .value_kind:     hidden_grid_dims
    .group_segment_fixed_size: 0
    .kernarg_segment_align: 8
    .kernarg_segment_size: 320
    .language:       OpenCL C
    .language_version:
      - 2
      - 0
    .max_flat_workgroup_size: 512
    .name:           _ZN9rocsparseL24sddmm_coox_sample_kernelILi512ELb0E21rocsparse_complex_numIdEiiS2_EEvT3_S3_T2_PKT4_S3_PS5_PKS4_SA_21rocsparse_index_base_
    .private_segment_fixed_size: 0
    .sgpr_count:     20
    .sgpr_spill_count: 0
    .symbol:         _ZN9rocsparseL24sddmm_coox_sample_kernelILi512ELb0E21rocsparse_complex_numIdEiiS2_EEvT3_S3_T2_PKT4_S3_PS5_PKS4_SA_21rocsparse_index_base_.kd
    .uniform_work_group_size: 1
    .uses_dynamic_stack: false
    .vgpr_count:     12
    .vgpr_spill_count: 0
    .wavefront_size: 64
  - .agpr_count:     0
    .args:
      - .offset:         0
        .size:           4
        .value_kind:     by_value
      - .offset:         4
        .size:           4
        .value_kind:     by_value
      - .offset:         8
        .size:           4
        .value_kind:     by_value
      - .offset:         12
        .size:           4
        .value_kind:     by_value
      - .offset:         16
        .size:           4
        .value_kind:     by_value
      - .offset:         20
        .size:           4
        .value_kind:     by_value
      - .offset:         24
        .size:           4
        .value_kind:     by_value
      - .offset:         28
        .size:           4
        .value_kind:     by_value
      - .offset:         32
        .size:           16
        .value_kind:     by_value
      - .actual_access:  read_only
        .address_space:  global
        .offset:         48
        .size:           8
        .value_kind:     global_buffer
      - .offset:         56
        .size:           8
        .value_kind:     by_value
      - .actual_access:  read_only
        .address_space:  global
        .offset:         64
        .size:           8
        .value_kind:     global_buffer
      - .offset:         72
        .size:           8
        .value_kind:     by_value
      - .offset:         80
        .size:           16
        .value_kind:     by_value
      - .address_space:  global
        .offset:         96
        .size:           8
        .value_kind:     global_buffer
      - .actual_access:  read_only
        .address_space:  global
        .offset:         104
        .size:           8
        .value_kind:     global_buffer
      - .actual_access:  read_only
        .address_space:  global
        .offset:         112
        .size:           8
        .value_kind:     global_buffer
      - .offset:         120
        .size:           4
        .value_kind:     by_value
      - .offset:         124
        .size:           1
        .value_kind:     by_value
    .group_segment_fixed_size: 16384
    .kernarg_segment_align: 8
    .kernarg_segment_size: 128
    .language:       OpenCL C
    .language_version:
      - 2
      - 0
    .max_flat_workgroup_size: 512
    .name:           _ZN9rocsparseL17sddmm_coox_kernelILi512ELi8ELb0E21rocsparse_complex_numIdEiiS2_S2_S2_EEv20rocsparse_operation_S3_16rocsparse_order_S4_T4_S5_S5_T3_NS_24const_host_device_scalarIT2_EEPKT5_lPKT6_lS9_PT7_PKS6_SJ_21rocsparse_index_base_b
    .private_segment_fixed_size: 0
    .sgpr_count:     28
    .sgpr_spill_count: 0
    .symbol:         _ZN9rocsparseL17sddmm_coox_kernelILi512ELi8ELb0E21rocsparse_complex_numIdEiiS2_S2_S2_EEv20rocsparse_operation_S3_16rocsparse_order_S4_T4_S5_S5_T3_NS_24const_host_device_scalarIT2_EEPKT5_lPKT6_lS9_PT7_PKS6_SJ_21rocsparse_index_base_b.kd
    .uniform_work_group_size: 1
    .uses_dynamic_stack: false
    .vgpr_count:     38
    .vgpr_spill_count: 0
    .wavefront_size: 64
  - .agpr_count:     0
    .args:
      - .offset:         0
        .size:           4
        .value_kind:     by_value
      - .offset:         4
        .size:           4
        .value_kind:     by_value
      - .offset:         8
        .size:           4
        .value_kind:     by_value
      - .offset:         12
        .size:           4
        .value_kind:     by_value
      - .offset:         16
        .size:           4
        .value_kind:     by_value
      - .offset:         20
        .size:           4
        .value_kind:     by_value
      - .offset:         24
        .size:           4
        .value_kind:     by_value
      - .offset:         28
        .size:           4
        .value_kind:     by_value
      - .offset:         32
        .size:           16
        .value_kind:     by_value
      - .actual_access:  read_only
        .address_space:  global
        .offset:         48
        .size:           8
        .value_kind:     global_buffer
      - .offset:         56
        .size:           8
        .value_kind:     by_value
      - .actual_access:  read_only
        .address_space:  global
        .offset:         64
        .size:           8
        .value_kind:     global_buffer
      - .offset:         72
        .size:           8
        .value_kind:     by_value
      - .offset:         80
        .size:           16
        .value_kind:     by_value
      - .address_space:  global
        .offset:         96
        .size:           8
        .value_kind:     global_buffer
      - .actual_access:  read_only
        .address_space:  global
        .offset:         104
        .size:           8
        .value_kind:     global_buffer
      - .actual_access:  read_only
        .address_space:  global
        .offset:         112
        .size:           8
        .value_kind:     global_buffer
      - .offset:         120
        .size:           4
        .value_kind:     by_value
      - .offset:         124
        .size:           1
        .value_kind:     by_value
    .group_segment_fixed_size: 16384
    .kernarg_segment_align: 8
    .kernarg_segment_size: 128
    .language:       OpenCL C
    .language_version:
      - 2
      - 0
    .max_flat_workgroup_size: 512
    .name:           _ZN9rocsparseL17sddmm_coox_kernelILi512ELi4ELb0E21rocsparse_complex_numIdEiiS2_S2_S2_EEv20rocsparse_operation_S3_16rocsparse_order_S4_T4_S5_S5_T3_NS_24const_host_device_scalarIT2_EEPKT5_lPKT6_lS9_PT7_PKS6_SJ_21rocsparse_index_base_b
    .private_segment_fixed_size: 0
    .sgpr_count:     28
    .sgpr_spill_count: 0
    .symbol:         _ZN9rocsparseL17sddmm_coox_kernelILi512ELi4ELb0E21rocsparse_complex_numIdEiiS2_S2_S2_EEv20rocsparse_operation_S3_16rocsparse_order_S4_T4_S5_S5_T3_NS_24const_host_device_scalarIT2_EEPKT5_lPKT6_lS9_PT7_PKS6_SJ_21rocsparse_index_base_b.kd
    .uniform_work_group_size: 1
    .uses_dynamic_stack: false
    .vgpr_count:     38
    .vgpr_spill_count: 0
    .wavefront_size: 64
  - .agpr_count:     0
    .args:
      - .offset:         0
        .size:           4
        .value_kind:     by_value
      - .offset:         4
        .size:           4
        .value_kind:     by_value
      - .offset:         8
        .size:           4
        .value_kind:     by_value
      - .offset:         12
        .size:           4
        .value_kind:     by_value
      - .offset:         16
        .size:           4
        .value_kind:     by_value
      - .offset:         20
        .size:           4
        .value_kind:     by_value
      - .offset:         24
        .size:           4
        .value_kind:     by_value
      - .offset:         28
        .size:           4
        .value_kind:     by_value
      - .offset:         32
        .size:           16
        .value_kind:     by_value
      - .actual_access:  read_only
        .address_space:  global
        .offset:         48
        .size:           8
        .value_kind:     global_buffer
      - .offset:         56
        .size:           8
        .value_kind:     by_value
      - .actual_access:  read_only
        .address_space:  global
        .offset:         64
        .size:           8
        .value_kind:     global_buffer
      - .offset:         72
        .size:           8
        .value_kind:     by_value
      - .offset:         80
        .size:           16
        .value_kind:     by_value
      - .address_space:  global
        .offset:         96
        .size:           8
        .value_kind:     global_buffer
      - .actual_access:  read_only
        .address_space:  global
        .offset:         104
        .size:           8
        .value_kind:     global_buffer
      - .actual_access:  read_only
        .address_space:  global
        .offset:         112
        .size:           8
        .value_kind:     global_buffer
      - .offset:         120
        .size:           4
        .value_kind:     by_value
      - .offset:         124
        .size:           1
        .value_kind:     by_value
    .group_segment_fixed_size: 16384
    .kernarg_segment_align: 8
    .kernarg_segment_size: 128
    .language:       OpenCL C
    .language_version:
      - 2
      - 0
    .max_flat_workgroup_size: 512
    .name:           _ZN9rocsparseL17sddmm_coox_kernelILi512ELi2ELb0E21rocsparse_complex_numIdEiiS2_S2_S2_EEv20rocsparse_operation_S3_16rocsparse_order_S4_T4_S5_S5_T3_NS_24const_host_device_scalarIT2_EEPKT5_lPKT6_lS9_PT7_PKS6_SJ_21rocsparse_index_base_b
    .private_segment_fixed_size: 0
    .sgpr_count:     28
    .sgpr_spill_count: 0
    .symbol:         _ZN9rocsparseL17sddmm_coox_kernelILi512ELi2ELb0E21rocsparse_complex_numIdEiiS2_S2_S2_EEv20rocsparse_operation_S3_16rocsparse_order_S4_T4_S5_S5_T3_NS_24const_host_device_scalarIT2_EEPKT5_lPKT6_lS9_PT7_PKS6_SJ_21rocsparse_index_base_b.kd
    .uniform_work_group_size: 1
    .uses_dynamic_stack: false
    .vgpr_count:     38
    .vgpr_spill_count: 0
    .wavefront_size: 64
  - .agpr_count:     0
    .args:
      - .offset:         0
        .size:           4
        .value_kind:     by_value
      - .offset:         4
        .size:           4
        .value_kind:     by_value
      - .offset:         8
        .size:           4
        .value_kind:     by_value
      - .offset:         12
        .size:           4
        .value_kind:     by_value
      - .offset:         16
        .size:           4
        .value_kind:     by_value
      - .offset:         20
        .size:           4
        .value_kind:     by_value
      - .offset:         24
        .size:           4
        .value_kind:     by_value
      - .offset:         28
        .size:           4
        .value_kind:     by_value
      - .offset:         32
        .size:           16
        .value_kind:     by_value
      - .actual_access:  read_only
        .address_space:  global
        .offset:         48
        .size:           8
        .value_kind:     global_buffer
      - .offset:         56
        .size:           8
        .value_kind:     by_value
      - .actual_access:  read_only
        .address_space:  global
        .offset:         64
        .size:           8
        .value_kind:     global_buffer
      - .offset:         72
        .size:           8
        .value_kind:     by_value
      - .offset:         80
        .size:           16
        .value_kind:     by_value
      - .address_space:  global
        .offset:         96
        .size:           8
        .value_kind:     global_buffer
      - .actual_access:  read_only
        .address_space:  global
        .offset:         104
        .size:           8
        .value_kind:     global_buffer
      - .actual_access:  read_only
        .address_space:  global
        .offset:         112
        .size:           8
        .value_kind:     global_buffer
      - .offset:         120
        .size:           4
        .value_kind:     by_value
      - .offset:         124
        .size:           1
        .value_kind:     by_value
    .group_segment_fixed_size: 16384
    .kernarg_segment_align: 8
    .kernarg_segment_size: 128
    .language:       OpenCL C
    .language_version:
      - 2
      - 0
    .max_flat_workgroup_size: 512
    .name:           _ZN9rocsparseL17sddmm_coox_kernelILi512ELi1ELb0E21rocsparse_complex_numIdEiiS2_S2_S2_EEv20rocsparse_operation_S3_16rocsparse_order_S4_T4_S5_S5_T3_NS_24const_host_device_scalarIT2_EEPKT5_lPKT6_lS9_PT7_PKS6_SJ_21rocsparse_index_base_b
    .private_segment_fixed_size: 0
    .sgpr_count:     26
    .sgpr_spill_count: 0
    .symbol:         _ZN9rocsparseL17sddmm_coox_kernelILi512ELi1ELb0E21rocsparse_complex_numIdEiiS2_S2_S2_EEv20rocsparse_operation_S3_16rocsparse_order_S4_T4_S5_S5_T3_NS_24const_host_device_scalarIT2_EEPKT5_lPKT6_lS9_PT7_PKS6_SJ_21rocsparse_index_base_b.kd
    .uniform_work_group_size: 1
    .uses_dynamic_stack: false
    .vgpr_count:     32
    .vgpr_spill_count: 0
    .wavefront_size: 64
  - .agpr_count:     0
    .args:
      - .offset:         0
        .size:           8
        .value_kind:     by_value
      - .offset:         8
        .size:           8
        .value_kind:     by_value
      - .offset:         16
        .size:           8
        .value_kind:     by_value
      - .actual_access:  read_only
        .address_space:  global
        .offset:         24
        .size:           8
        .value_kind:     global_buffer
      - .offset:         32
        .size:           8
        .value_kind:     by_value
      - .actual_access:  write_only
        .address_space:  global
        .offset:         40
        .size:           8
        .value_kind:     global_buffer
      - .actual_access:  read_only
        .address_space:  global
        .offset:         48
        .size:           8
        .value_kind:     global_buffer
      - .actual_access:  read_only
        .address_space:  global
        .offset:         56
        .size:           8
        .value_kind:     global_buffer
      - .offset:         64
        .size:           4
        .value_kind:     by_value
      - .offset:         72
        .size:           4
        .value_kind:     hidden_block_count_x
      - .offset:         76
        .size:           4
        .value_kind:     hidden_block_count_y
      - .offset:         80
        .size:           4
        .value_kind:     hidden_block_count_z
      - .offset:         84
        .size:           2
        .value_kind:     hidden_group_size_x
      - .offset:         86
        .size:           2
        .value_kind:     hidden_group_size_y
      - .offset:         88
        .size:           2
        .value_kind:     hidden_group_size_z
      - .offset:         90
        .size:           2
        .value_kind:     hidden_remainder_x
      - .offset:         92
        .size:           2
        .value_kind:     hidden_remainder_y
      - .offset:         94
        .size:           2
        .value_kind:     hidden_remainder_z
      - .offset:         112
        .size:           8
        .value_kind:     hidden_global_offset_x
      - .offset:         120
        .size:           8
        .value_kind:     hidden_global_offset_y
      - .offset:         128
        .size:           8
        .value_kind:     hidden_global_offset_z
      - .offset:         136
        .size:           2
        .value_kind:     hidden_grid_dims
    .group_segment_fixed_size: 0
    .kernarg_segment_align: 8
    .kernarg_segment_size: 328
    .language:       OpenCL C
    .language_version:
      - 2
      - 0
    .max_flat_workgroup_size: 512
    .name:           _ZN9rocsparseL24sddmm_coox_sample_kernelILi512ELb0EDF16_llDF16_EEvT3_S1_T2_PKT4_S1_PS3_PKS2_S8_21rocsparse_index_base_
    .private_segment_fixed_size: 0
    .sgpr_count:     22
    .sgpr_spill_count: 0
    .symbol:         _ZN9rocsparseL24sddmm_coox_sample_kernelILi512ELb0EDF16_llDF16_EEvT3_S1_T2_PKT4_S1_PS3_PKS2_S8_21rocsparse_index_base_.kd
    .uniform_work_group_size: 1
    .uses_dynamic_stack: false
    .vgpr_count:     18
    .vgpr_spill_count: 0
    .wavefront_size: 64
  - .agpr_count:     0
    .args:
      - .offset:         0
        .size:           4
        .value_kind:     by_value
      - .offset:         4
        .size:           4
        .value_kind:     by_value
      - .offset:         8
        .size:           4
        .value_kind:     by_value
      - .offset:         12
        .size:           4
        .value_kind:     by_value
      - .offset:         16
        .size:           8
        .value_kind:     by_value
      - .offset:         24
        .size:           8
        .value_kind:     by_value
      - .offset:         32
        .size:           8
        .value_kind:     by_value
      - .offset:         40
        .size:           8
        .value_kind:     by_value
      - .offset:         48
        .size:           8
        .value_kind:     by_value
      - .actual_access:  read_only
        .address_space:  global
        .offset:         56
        .size:           8
        .value_kind:     global_buffer
      - .offset:         64
        .size:           8
        .value_kind:     by_value
      - .actual_access:  read_only
        .address_space:  global
        .offset:         72
        .size:           8
        .value_kind:     global_buffer
      - .offset:         80
        .size:           8
        .value_kind:     by_value
      - .offset:         88
        .size:           8
        .value_kind:     by_value
      - .address_space:  global
        .offset:         96
        .size:           8
        .value_kind:     global_buffer
      - .actual_access:  read_only
        .address_space:  global
        .offset:         104
        .size:           8
        .value_kind:     global_buffer
      - .actual_access:  read_only
        .address_space:  global
        .offset:         112
        .size:           8
        .value_kind:     global_buffer
      - .offset:         120
        .size:           4
        .value_kind:     by_value
      - .offset:         124
        .size:           1
        .value_kind:     by_value
    .group_segment_fixed_size: 1024
    .kernarg_segment_align: 8
    .kernarg_segment_size: 128
    .language:       OpenCL C
    .language_version:
      - 2
      - 0
    .max_flat_workgroup_size: 512
    .name:           _ZN9rocsparseL17sddmm_coox_kernelILi512ELi8ELb0EDF16_llDF16_DF16_DF16_EEv20rocsparse_operation_S1_16rocsparse_order_S2_T4_S3_S3_T3_NS_24const_host_device_scalarIT2_EEPKT5_lPKT6_lS7_PT7_PKS4_SH_21rocsparse_index_base_b
    .private_segment_fixed_size: 0
    .sgpr_count:     28
    .sgpr_spill_count: 0
    .symbol:         _ZN9rocsparseL17sddmm_coox_kernelILi512ELi8ELb0EDF16_llDF16_DF16_DF16_EEv20rocsparse_operation_S1_16rocsparse_order_S2_T4_S3_S3_T3_NS_24const_host_device_scalarIT2_EEPKT5_lPKT6_lS7_PT7_PKS4_SH_21rocsparse_index_base_b.kd
    .uniform_work_group_size: 1
    .uses_dynamic_stack: false
    .vgpr_count:     17
    .vgpr_spill_count: 0
    .wavefront_size: 64
  - .agpr_count:     0
    .args:
      - .offset:         0
        .size:           4
        .value_kind:     by_value
      - .offset:         4
        .size:           4
        .value_kind:     by_value
      - .offset:         8
        .size:           4
        .value_kind:     by_value
      - .offset:         12
        .size:           4
        .value_kind:     by_value
      - .offset:         16
        .size:           8
        .value_kind:     by_value
      - .offset:         24
        .size:           8
        .value_kind:     by_value
      - .offset:         32
        .size:           8
        .value_kind:     by_value
      - .offset:         40
        .size:           8
        .value_kind:     by_value
      - .offset:         48
        .size:           8
        .value_kind:     by_value
      - .actual_access:  read_only
        .address_space:  global
        .offset:         56
        .size:           8
        .value_kind:     global_buffer
      - .offset:         64
        .size:           8
        .value_kind:     by_value
      - .actual_access:  read_only
        .address_space:  global
        .offset:         72
        .size:           8
        .value_kind:     global_buffer
      - .offset:         80
        .size:           8
        .value_kind:     by_value
      - .offset:         88
        .size:           8
        .value_kind:     by_value
      - .address_space:  global
        .offset:         96
        .size:           8
        .value_kind:     global_buffer
      - .actual_access:  read_only
        .address_space:  global
        .offset:         104
        .size:           8
        .value_kind:     global_buffer
      - .actual_access:  read_only
        .address_space:  global
        .offset:         112
        .size:           8
        .value_kind:     global_buffer
      - .offset:         120
        .size:           4
        .value_kind:     by_value
      - .offset:         124
        .size:           1
        .value_kind:     by_value
    .group_segment_fixed_size: 1024
    .kernarg_segment_align: 8
    .kernarg_segment_size: 128
    .language:       OpenCL C
    .language_version:
      - 2
      - 0
    .max_flat_workgroup_size: 512
    .name:           _ZN9rocsparseL17sddmm_coox_kernelILi512ELi4ELb0EDF16_llDF16_DF16_DF16_EEv20rocsparse_operation_S1_16rocsparse_order_S2_T4_S3_S3_T3_NS_24const_host_device_scalarIT2_EEPKT5_lPKT6_lS7_PT7_PKS4_SH_21rocsparse_index_base_b
    .private_segment_fixed_size: 0
    .sgpr_count:     28
    .sgpr_spill_count: 0
    .symbol:         _ZN9rocsparseL17sddmm_coox_kernelILi512ELi4ELb0EDF16_llDF16_DF16_DF16_EEv20rocsparse_operation_S1_16rocsparse_order_S2_T4_S3_S3_T3_NS_24const_host_device_scalarIT2_EEPKT5_lPKT6_lS7_PT7_PKS4_SH_21rocsparse_index_base_b.kd
    .uniform_work_group_size: 1
    .uses_dynamic_stack: false
    .vgpr_count:     17
    .vgpr_spill_count: 0
    .wavefront_size: 64
  - .agpr_count:     0
    .args:
      - .offset:         0
        .size:           4
        .value_kind:     by_value
      - .offset:         4
        .size:           4
        .value_kind:     by_value
      - .offset:         8
        .size:           4
        .value_kind:     by_value
      - .offset:         12
        .size:           4
        .value_kind:     by_value
      - .offset:         16
        .size:           8
        .value_kind:     by_value
      - .offset:         24
        .size:           8
        .value_kind:     by_value
      - .offset:         32
        .size:           8
        .value_kind:     by_value
      - .offset:         40
        .size:           8
        .value_kind:     by_value
      - .offset:         48
        .size:           8
        .value_kind:     by_value
      - .actual_access:  read_only
        .address_space:  global
        .offset:         56
        .size:           8
        .value_kind:     global_buffer
      - .offset:         64
        .size:           8
        .value_kind:     by_value
      - .actual_access:  read_only
        .address_space:  global
        .offset:         72
        .size:           8
        .value_kind:     global_buffer
      - .offset:         80
        .size:           8
        .value_kind:     by_value
      - .offset:         88
        .size:           8
        .value_kind:     by_value
      - .address_space:  global
        .offset:         96
        .size:           8
        .value_kind:     global_buffer
      - .actual_access:  read_only
        .address_space:  global
        .offset:         104
        .size:           8
        .value_kind:     global_buffer
      - .actual_access:  read_only
        .address_space:  global
        .offset:         112
        .size:           8
        .value_kind:     global_buffer
      - .offset:         120
        .size:           4
        .value_kind:     by_value
      - .offset:         124
        .size:           1
        .value_kind:     by_value
    .group_segment_fixed_size: 1024
    .kernarg_segment_align: 8
    .kernarg_segment_size: 128
    .language:       OpenCL C
    .language_version:
      - 2
      - 0
    .max_flat_workgroup_size: 512
    .name:           _ZN9rocsparseL17sddmm_coox_kernelILi512ELi2ELb0EDF16_llDF16_DF16_DF16_EEv20rocsparse_operation_S1_16rocsparse_order_S2_T4_S3_S3_T3_NS_24const_host_device_scalarIT2_EEPKT5_lPKT6_lS7_PT7_PKS4_SH_21rocsparse_index_base_b
    .private_segment_fixed_size: 0
    .sgpr_count:     28
    .sgpr_spill_count: 0
    .symbol:         _ZN9rocsparseL17sddmm_coox_kernelILi512ELi2ELb0EDF16_llDF16_DF16_DF16_EEv20rocsparse_operation_S1_16rocsparse_order_S2_T4_S3_S3_T3_NS_24const_host_device_scalarIT2_EEPKT5_lPKT6_lS7_PT7_PKS4_SH_21rocsparse_index_base_b.kd
    .uniform_work_group_size: 1
    .uses_dynamic_stack: false
    .vgpr_count:     17
    .vgpr_spill_count: 0
    .wavefront_size: 64
  - .agpr_count:     0
    .args:
      - .offset:         0
        .size:           4
        .value_kind:     by_value
      - .offset:         4
        .size:           4
        .value_kind:     by_value
      - .offset:         8
        .size:           4
        .value_kind:     by_value
      - .offset:         12
        .size:           4
        .value_kind:     by_value
      - .offset:         16
        .size:           8
        .value_kind:     by_value
      - .offset:         24
        .size:           8
        .value_kind:     by_value
      - .offset:         32
        .size:           8
        .value_kind:     by_value
      - .offset:         40
        .size:           8
        .value_kind:     by_value
      - .offset:         48
        .size:           8
        .value_kind:     by_value
      - .actual_access:  read_only
        .address_space:  global
        .offset:         56
        .size:           8
        .value_kind:     global_buffer
      - .offset:         64
        .size:           8
        .value_kind:     by_value
      - .actual_access:  read_only
        .address_space:  global
        .offset:         72
        .size:           8
        .value_kind:     global_buffer
      - .offset:         80
        .size:           8
        .value_kind:     by_value
      - .offset:         88
        .size:           8
        .value_kind:     by_value
      - .address_space:  global
        .offset:         96
        .size:           8
        .value_kind:     global_buffer
      - .actual_access:  read_only
        .address_space:  global
        .offset:         104
        .size:           8
        .value_kind:     global_buffer
      - .actual_access:  read_only
        .address_space:  global
        .offset:         112
        .size:           8
        .value_kind:     global_buffer
      - .offset:         120
        .size:           4
        .value_kind:     by_value
      - .offset:         124
        .size:           1
        .value_kind:     by_value
    .group_segment_fixed_size: 1024
    .kernarg_segment_align: 8
    .kernarg_segment_size: 128
    .language:       OpenCL C
    .language_version:
      - 2
      - 0
    .max_flat_workgroup_size: 512
    .name:           _ZN9rocsparseL17sddmm_coox_kernelILi512ELi1ELb0EDF16_llDF16_DF16_DF16_EEv20rocsparse_operation_S1_16rocsparse_order_S2_T4_S3_S3_T3_NS_24const_host_device_scalarIT2_EEPKT5_lPKT6_lS7_PT7_PKS4_SH_21rocsparse_index_base_b
    .private_segment_fixed_size: 0
    .sgpr_count:     26
    .sgpr_spill_count: 0
    .symbol:         _ZN9rocsparseL17sddmm_coox_kernelILi512ELi1ELb0EDF16_llDF16_DF16_DF16_EEv20rocsparse_operation_S1_16rocsparse_order_S2_T4_S3_S3_T3_NS_24const_host_device_scalarIT2_EEPKT5_lPKT6_lS7_PT7_PKS4_SH_21rocsparse_index_base_b.kd
    .uniform_work_group_size: 1
    .uses_dynamic_stack: false
    .vgpr_count:     14
    .vgpr_spill_count: 0
    .wavefront_size: 64
  - .agpr_count:     0
    .args:
      - .offset:         0
        .size:           8
        .value_kind:     by_value
      - .offset:         8
        .size:           8
        .value_kind:     by_value
      - .offset:         16
        .size:           8
        .value_kind:     by_value
      - .actual_access:  read_only
        .address_space:  global
        .offset:         24
        .size:           8
        .value_kind:     global_buffer
      - .offset:         32
        .size:           8
        .value_kind:     by_value
      - .actual_access:  write_only
        .address_space:  global
        .offset:         40
        .size:           8
        .value_kind:     global_buffer
      - .actual_access:  read_only
        .address_space:  global
        .offset:         48
        .size:           8
        .value_kind:     global_buffer
      - .actual_access:  read_only
        .address_space:  global
        .offset:         56
        .size:           8
        .value_kind:     global_buffer
      - .offset:         64
        .size:           4
        .value_kind:     by_value
      - .offset:         72
        .size:           4
        .value_kind:     hidden_block_count_x
      - .offset:         76
        .size:           4
        .value_kind:     hidden_block_count_y
      - .offset:         80
        .size:           4
        .value_kind:     hidden_block_count_z
      - .offset:         84
        .size:           2
        .value_kind:     hidden_group_size_x
      - .offset:         86
        .size:           2
        .value_kind:     hidden_group_size_y
      - .offset:         88
        .size:           2
        .value_kind:     hidden_group_size_z
      - .offset:         90
        .size:           2
        .value_kind:     hidden_remainder_x
      - .offset:         92
        .size:           2
        .value_kind:     hidden_remainder_y
      - .offset:         94
        .size:           2
        .value_kind:     hidden_remainder_z
      - .offset:         112
        .size:           8
        .value_kind:     hidden_global_offset_x
      - .offset:         120
        .size:           8
        .value_kind:     hidden_global_offset_y
      - .offset:         128
        .size:           8
        .value_kind:     hidden_global_offset_z
      - .offset:         136
        .size:           2
        .value_kind:     hidden_grid_dims
    .group_segment_fixed_size: 0
    .kernarg_segment_align: 8
    .kernarg_segment_size: 328
    .language:       OpenCL C
    .language_version:
      - 2
      - 0
    .max_flat_workgroup_size: 512
    .name:           _ZN9rocsparseL24sddmm_coox_sample_kernelILi512ELb0EfllfEEvT3_S1_T2_PKT4_S1_PS3_PKS2_S8_21rocsparse_index_base_
    .private_segment_fixed_size: 0
    .sgpr_count:     22
    .sgpr_spill_count: 0
    .symbol:         _ZN9rocsparseL24sddmm_coox_sample_kernelILi512ELb0EfllfEEvT3_S1_T2_PKT4_S1_PS3_PKS2_S8_21rocsparse_index_base_.kd
    .uniform_work_group_size: 1
    .uses_dynamic_stack: false
    .vgpr_count:     18
    .vgpr_spill_count: 0
    .wavefront_size: 64
  - .agpr_count:     0
    .args:
      - .offset:         0
        .size:           4
        .value_kind:     by_value
      - .offset:         4
        .size:           4
        .value_kind:     by_value
      - .offset:         8
        .size:           4
        .value_kind:     by_value
      - .offset:         12
        .size:           4
        .value_kind:     by_value
      - .offset:         16
        .size:           8
        .value_kind:     by_value
      - .offset:         24
        .size:           8
        .value_kind:     by_value
      - .offset:         32
        .size:           8
        .value_kind:     by_value
      - .offset:         40
        .size:           8
        .value_kind:     by_value
      - .offset:         48
        .size:           8
        .value_kind:     by_value
      - .actual_access:  read_only
        .address_space:  global
        .offset:         56
        .size:           8
        .value_kind:     global_buffer
      - .offset:         64
        .size:           8
        .value_kind:     by_value
      - .actual_access:  read_only
        .address_space:  global
        .offset:         72
        .size:           8
        .value_kind:     global_buffer
      - .offset:         80
        .size:           8
        .value_kind:     by_value
      - .offset:         88
        .size:           8
        .value_kind:     by_value
      - .address_space:  global
        .offset:         96
        .size:           8
        .value_kind:     global_buffer
      - .actual_access:  read_only
        .address_space:  global
        .offset:         104
        .size:           8
        .value_kind:     global_buffer
      - .actual_access:  read_only
        .address_space:  global
        .offset:         112
        .size:           8
        .value_kind:     global_buffer
      - .offset:         120
        .size:           4
        .value_kind:     by_value
      - .offset:         124
        .size:           1
        .value_kind:     by_value
    .group_segment_fixed_size: 2048
    .kernarg_segment_align: 8
    .kernarg_segment_size: 128
    .language:       OpenCL C
    .language_version:
      - 2
      - 0
    .max_flat_workgroup_size: 512
    .name:           _ZN9rocsparseL17sddmm_coox_kernelILi512ELi8ELb0EfllfffEEv20rocsparse_operation_S1_16rocsparse_order_S2_T4_S3_S3_T3_NS_24const_host_device_scalarIT2_EEPKT5_lPKT6_lS7_PT7_PKS4_SH_21rocsparse_index_base_b
    .private_segment_fixed_size: 0
    .sgpr_count:     32
    .sgpr_spill_count: 0
    .symbol:         _ZN9rocsparseL17sddmm_coox_kernelILi512ELi8ELb0EfllfffEEv20rocsparse_operation_S1_16rocsparse_order_S2_T4_S3_S3_T3_NS_24const_host_device_scalarIT2_EEPKT5_lPKT6_lS7_PT7_PKS4_SH_21rocsparse_index_base_b.kd
    .uniform_work_group_size: 1
    .uses_dynamic_stack: false
    .vgpr_count:     15
    .vgpr_spill_count: 0
    .wavefront_size: 64
  - .agpr_count:     0
    .args:
      - .offset:         0
        .size:           4
        .value_kind:     by_value
      - .offset:         4
        .size:           4
        .value_kind:     by_value
      - .offset:         8
        .size:           4
        .value_kind:     by_value
      - .offset:         12
        .size:           4
        .value_kind:     by_value
      - .offset:         16
        .size:           8
        .value_kind:     by_value
      - .offset:         24
        .size:           8
        .value_kind:     by_value
      - .offset:         32
        .size:           8
        .value_kind:     by_value
      - .offset:         40
        .size:           8
        .value_kind:     by_value
      - .offset:         48
        .size:           8
        .value_kind:     by_value
      - .actual_access:  read_only
        .address_space:  global
        .offset:         56
        .size:           8
        .value_kind:     global_buffer
      - .offset:         64
        .size:           8
        .value_kind:     by_value
      - .actual_access:  read_only
        .address_space:  global
        .offset:         72
        .size:           8
        .value_kind:     global_buffer
      - .offset:         80
        .size:           8
        .value_kind:     by_value
      - .offset:         88
        .size:           8
        .value_kind:     by_value
      - .address_space:  global
        .offset:         96
        .size:           8
        .value_kind:     global_buffer
      - .actual_access:  read_only
        .address_space:  global
        .offset:         104
        .size:           8
        .value_kind:     global_buffer
      - .actual_access:  read_only
        .address_space:  global
        .offset:         112
        .size:           8
        .value_kind:     global_buffer
      - .offset:         120
        .size:           4
        .value_kind:     by_value
      - .offset:         124
        .size:           1
        .value_kind:     by_value
    .group_segment_fixed_size: 2048
    .kernarg_segment_align: 8
    .kernarg_segment_size: 128
    .language:       OpenCL C
    .language_version:
      - 2
      - 0
    .max_flat_workgroup_size: 512
    .name:           _ZN9rocsparseL17sddmm_coox_kernelILi512ELi4ELb0EfllfffEEv20rocsparse_operation_S1_16rocsparse_order_S2_T4_S3_S3_T3_NS_24const_host_device_scalarIT2_EEPKT5_lPKT6_lS7_PT7_PKS4_SH_21rocsparse_index_base_b
    .private_segment_fixed_size: 0
    .sgpr_count:     32
    .sgpr_spill_count: 0
    .symbol:         _ZN9rocsparseL17sddmm_coox_kernelILi512ELi4ELb0EfllfffEEv20rocsparse_operation_S1_16rocsparse_order_S2_T4_S3_S3_T3_NS_24const_host_device_scalarIT2_EEPKT5_lPKT6_lS7_PT7_PKS4_SH_21rocsparse_index_base_b.kd
    .uniform_work_group_size: 1
    .uses_dynamic_stack: false
    .vgpr_count:     15
    .vgpr_spill_count: 0
    .wavefront_size: 64
  - .agpr_count:     0
    .args:
      - .offset:         0
        .size:           4
        .value_kind:     by_value
      - .offset:         4
        .size:           4
        .value_kind:     by_value
      - .offset:         8
        .size:           4
        .value_kind:     by_value
      - .offset:         12
        .size:           4
        .value_kind:     by_value
      - .offset:         16
        .size:           8
        .value_kind:     by_value
      - .offset:         24
        .size:           8
        .value_kind:     by_value
      - .offset:         32
        .size:           8
        .value_kind:     by_value
      - .offset:         40
        .size:           8
        .value_kind:     by_value
      - .offset:         48
        .size:           8
        .value_kind:     by_value
      - .actual_access:  read_only
        .address_space:  global
        .offset:         56
        .size:           8
        .value_kind:     global_buffer
      - .offset:         64
        .size:           8
        .value_kind:     by_value
      - .actual_access:  read_only
        .address_space:  global
        .offset:         72
        .size:           8
        .value_kind:     global_buffer
      - .offset:         80
        .size:           8
        .value_kind:     by_value
      - .offset:         88
        .size:           8
        .value_kind:     by_value
      - .address_space:  global
        .offset:         96
        .size:           8
        .value_kind:     global_buffer
      - .actual_access:  read_only
        .address_space:  global
        .offset:         104
        .size:           8
        .value_kind:     global_buffer
      - .actual_access:  read_only
        .address_space:  global
        .offset:         112
        .size:           8
        .value_kind:     global_buffer
      - .offset:         120
        .size:           4
        .value_kind:     by_value
      - .offset:         124
        .size:           1
        .value_kind:     by_value
    .group_segment_fixed_size: 2048
    .kernarg_segment_align: 8
    .kernarg_segment_size: 128
    .language:       OpenCL C
    .language_version:
      - 2
      - 0
    .max_flat_workgroup_size: 512
    .name:           _ZN9rocsparseL17sddmm_coox_kernelILi512ELi2ELb0EfllfffEEv20rocsparse_operation_S1_16rocsparse_order_S2_T4_S3_S3_T3_NS_24const_host_device_scalarIT2_EEPKT5_lPKT6_lS7_PT7_PKS4_SH_21rocsparse_index_base_b
    .private_segment_fixed_size: 0
    .sgpr_count:     32
    .sgpr_spill_count: 0
    .symbol:         _ZN9rocsparseL17sddmm_coox_kernelILi512ELi2ELb0EfllfffEEv20rocsparse_operation_S1_16rocsparse_order_S2_T4_S3_S3_T3_NS_24const_host_device_scalarIT2_EEPKT5_lPKT6_lS7_PT7_PKS4_SH_21rocsparse_index_base_b.kd
    .uniform_work_group_size: 1
    .uses_dynamic_stack: false
    .vgpr_count:     15
    .vgpr_spill_count: 0
    .wavefront_size: 64
  - .agpr_count:     0
    .args:
      - .offset:         0
        .size:           4
        .value_kind:     by_value
      - .offset:         4
        .size:           4
        .value_kind:     by_value
      - .offset:         8
        .size:           4
        .value_kind:     by_value
      - .offset:         12
        .size:           4
        .value_kind:     by_value
      - .offset:         16
        .size:           8
        .value_kind:     by_value
      - .offset:         24
        .size:           8
        .value_kind:     by_value
      - .offset:         32
        .size:           8
        .value_kind:     by_value
      - .offset:         40
        .size:           8
        .value_kind:     by_value
      - .offset:         48
        .size:           8
        .value_kind:     by_value
      - .actual_access:  read_only
        .address_space:  global
        .offset:         56
        .size:           8
        .value_kind:     global_buffer
      - .offset:         64
        .size:           8
        .value_kind:     by_value
      - .actual_access:  read_only
        .address_space:  global
        .offset:         72
        .size:           8
        .value_kind:     global_buffer
      - .offset:         80
        .size:           8
        .value_kind:     by_value
      - .offset:         88
        .size:           8
        .value_kind:     by_value
      - .address_space:  global
        .offset:         96
        .size:           8
        .value_kind:     global_buffer
      - .actual_access:  read_only
        .address_space:  global
        .offset:         104
        .size:           8
        .value_kind:     global_buffer
      - .actual_access:  read_only
        .address_space:  global
        .offset:         112
        .size:           8
        .value_kind:     global_buffer
      - .offset:         120
        .size:           4
        .value_kind:     by_value
      - .offset:         124
        .size:           1
        .value_kind:     by_value
    .group_segment_fixed_size: 2048
    .kernarg_segment_align: 8
    .kernarg_segment_size: 128
    .language:       OpenCL C
    .language_version:
      - 2
      - 0
    .max_flat_workgroup_size: 512
    .name:           _ZN9rocsparseL17sddmm_coox_kernelILi512ELi1ELb0EfllfffEEv20rocsparse_operation_S1_16rocsparse_order_S2_T4_S3_S3_T3_NS_24const_host_device_scalarIT2_EEPKT5_lPKT6_lS7_PT7_PKS4_SH_21rocsparse_index_base_b
    .private_segment_fixed_size: 0
    .sgpr_count:     30
    .sgpr_spill_count: 0
    .symbol:         _ZN9rocsparseL17sddmm_coox_kernelILi512ELi1ELb0EfllfffEEv20rocsparse_operation_S1_16rocsparse_order_S2_T4_S3_S3_T3_NS_24const_host_device_scalarIT2_EEPKT5_lPKT6_lS7_PT7_PKS4_SH_21rocsparse_index_base_b.kd
    .uniform_work_group_size: 1
    .uses_dynamic_stack: false
    .vgpr_count:     12
    .vgpr_spill_count: 0
    .wavefront_size: 64
  - .agpr_count:     0
    .args:
      - .offset:         0
        .size:           8
        .value_kind:     by_value
      - .offset:         8
        .size:           8
        .value_kind:     by_value
      - .offset:         16
        .size:           8
        .value_kind:     by_value
      - .actual_access:  read_only
        .address_space:  global
        .offset:         24
        .size:           8
        .value_kind:     global_buffer
      - .offset:         32
        .size:           8
        .value_kind:     by_value
      - .actual_access:  write_only
        .address_space:  global
        .offset:         40
        .size:           8
        .value_kind:     global_buffer
      - .actual_access:  read_only
        .address_space:  global
        .offset:         48
        .size:           8
        .value_kind:     global_buffer
      - .actual_access:  read_only
        .address_space:  global
        .offset:         56
        .size:           8
        .value_kind:     global_buffer
      - .offset:         64
        .size:           4
        .value_kind:     by_value
      - .offset:         72
        .size:           4
        .value_kind:     hidden_block_count_x
      - .offset:         76
        .size:           4
        .value_kind:     hidden_block_count_y
      - .offset:         80
        .size:           4
        .value_kind:     hidden_block_count_z
      - .offset:         84
        .size:           2
        .value_kind:     hidden_group_size_x
      - .offset:         86
        .size:           2
        .value_kind:     hidden_group_size_y
      - .offset:         88
        .size:           2
        .value_kind:     hidden_group_size_z
      - .offset:         90
        .size:           2
        .value_kind:     hidden_remainder_x
      - .offset:         92
        .size:           2
        .value_kind:     hidden_remainder_y
      - .offset:         94
        .size:           2
        .value_kind:     hidden_remainder_z
      - .offset:         112
        .size:           8
        .value_kind:     hidden_global_offset_x
      - .offset:         120
        .size:           8
        .value_kind:     hidden_global_offset_y
      - .offset:         128
        .size:           8
        .value_kind:     hidden_global_offset_z
      - .offset:         136
        .size:           2
        .value_kind:     hidden_grid_dims
    .group_segment_fixed_size: 0
    .kernarg_segment_align: 8
    .kernarg_segment_size: 328
    .language:       OpenCL C
    .language_version:
      - 2
      - 0
    .max_flat_workgroup_size: 512
    .name:           _ZN9rocsparseL24sddmm_coox_sample_kernelILi512ELb0EdlldEEvT3_S1_T2_PKT4_S1_PS3_PKS2_S8_21rocsparse_index_base_
    .private_segment_fixed_size: 0
    .sgpr_count:     22
    .sgpr_spill_count: 0
    .symbol:         _ZN9rocsparseL24sddmm_coox_sample_kernelILi512ELb0EdlldEEvT3_S1_T2_PKT4_S1_PS3_PKS2_S8_21rocsparse_index_base_.kd
    .uniform_work_group_size: 1
    .uses_dynamic_stack: false
    .vgpr_count:     18
    .vgpr_spill_count: 0
    .wavefront_size: 64
  - .agpr_count:     0
    .args:
      - .offset:         0
        .size:           4
        .value_kind:     by_value
      - .offset:         4
        .size:           4
        .value_kind:     by_value
      - .offset:         8
        .size:           4
        .value_kind:     by_value
      - .offset:         12
        .size:           4
        .value_kind:     by_value
      - .offset:         16
        .size:           8
        .value_kind:     by_value
      - .offset:         24
        .size:           8
        .value_kind:     by_value
      - .offset:         32
        .size:           8
        .value_kind:     by_value
      - .offset:         40
        .size:           8
        .value_kind:     by_value
      - .offset:         48
        .size:           8
        .value_kind:     by_value
      - .actual_access:  read_only
        .address_space:  global
        .offset:         56
        .size:           8
        .value_kind:     global_buffer
      - .offset:         64
        .size:           8
        .value_kind:     by_value
      - .actual_access:  read_only
        .address_space:  global
        .offset:         72
        .size:           8
        .value_kind:     global_buffer
      - .offset:         80
        .size:           8
        .value_kind:     by_value
      - .offset:         88
        .size:           8
        .value_kind:     by_value
      - .address_space:  global
        .offset:         96
        .size:           8
        .value_kind:     global_buffer
      - .actual_access:  read_only
        .address_space:  global
        .offset:         104
        .size:           8
        .value_kind:     global_buffer
      - .actual_access:  read_only
        .address_space:  global
        .offset:         112
        .size:           8
        .value_kind:     global_buffer
      - .offset:         120
        .size:           4
        .value_kind:     by_value
      - .offset:         124
        .size:           1
        .value_kind:     by_value
    .group_segment_fixed_size: 4096
    .kernarg_segment_align: 8
    .kernarg_segment_size: 128
    .language:       OpenCL C
    .language_version:
      - 2
      - 0
    .max_flat_workgroup_size: 512
    .name:           _ZN9rocsparseL17sddmm_coox_kernelILi512ELi8ELb0EdlldddEEv20rocsparse_operation_S1_16rocsparse_order_S2_T4_S3_S3_T3_NS_24const_host_device_scalarIT2_EEPKT5_lPKT6_lS7_PT7_PKS4_SH_21rocsparse_index_base_b
    .private_segment_fixed_size: 0
    .sgpr_count:     28
    .sgpr_spill_count: 0
    .symbol:         _ZN9rocsparseL17sddmm_coox_kernelILi512ELi8ELb0EdlldddEEv20rocsparse_operation_S1_16rocsparse_order_S2_T4_S3_S3_T3_NS_24const_host_device_scalarIT2_EEPKT5_lPKT6_lS7_PT7_PKS4_SH_21rocsparse_index_base_b.kd
    .uniform_work_group_size: 1
    .uses_dynamic_stack: false
    .vgpr_count:     24
    .vgpr_spill_count: 0
    .wavefront_size: 64
  - .agpr_count:     0
    .args:
      - .offset:         0
        .size:           4
        .value_kind:     by_value
      - .offset:         4
        .size:           4
        .value_kind:     by_value
      - .offset:         8
        .size:           4
        .value_kind:     by_value
      - .offset:         12
        .size:           4
        .value_kind:     by_value
      - .offset:         16
        .size:           8
        .value_kind:     by_value
      - .offset:         24
        .size:           8
        .value_kind:     by_value
      - .offset:         32
        .size:           8
        .value_kind:     by_value
      - .offset:         40
        .size:           8
        .value_kind:     by_value
      - .offset:         48
        .size:           8
        .value_kind:     by_value
      - .actual_access:  read_only
        .address_space:  global
        .offset:         56
        .size:           8
        .value_kind:     global_buffer
      - .offset:         64
        .size:           8
        .value_kind:     by_value
      - .actual_access:  read_only
        .address_space:  global
        .offset:         72
        .size:           8
        .value_kind:     global_buffer
      - .offset:         80
        .size:           8
        .value_kind:     by_value
      - .offset:         88
        .size:           8
        .value_kind:     by_value
      - .address_space:  global
        .offset:         96
        .size:           8
        .value_kind:     global_buffer
      - .actual_access:  read_only
        .address_space:  global
        .offset:         104
        .size:           8
        .value_kind:     global_buffer
      - .actual_access:  read_only
        .address_space:  global
        .offset:         112
        .size:           8
        .value_kind:     global_buffer
      - .offset:         120
        .size:           4
        .value_kind:     by_value
      - .offset:         124
        .size:           1
        .value_kind:     by_value
    .group_segment_fixed_size: 4096
    .kernarg_segment_align: 8
    .kernarg_segment_size: 128
    .language:       OpenCL C
    .language_version:
      - 2
      - 0
    .max_flat_workgroup_size: 512
    .name:           _ZN9rocsparseL17sddmm_coox_kernelILi512ELi4ELb0EdlldddEEv20rocsparse_operation_S1_16rocsparse_order_S2_T4_S3_S3_T3_NS_24const_host_device_scalarIT2_EEPKT5_lPKT6_lS7_PT7_PKS4_SH_21rocsparse_index_base_b
    .private_segment_fixed_size: 0
    .sgpr_count:     28
    .sgpr_spill_count: 0
    .symbol:         _ZN9rocsparseL17sddmm_coox_kernelILi512ELi4ELb0EdlldddEEv20rocsparse_operation_S1_16rocsparse_order_S2_T4_S3_S3_T3_NS_24const_host_device_scalarIT2_EEPKT5_lPKT6_lS7_PT7_PKS4_SH_21rocsparse_index_base_b.kd
    .uniform_work_group_size: 1
    .uses_dynamic_stack: false
    .vgpr_count:     24
    .vgpr_spill_count: 0
    .wavefront_size: 64
  - .agpr_count:     0
    .args:
      - .offset:         0
        .size:           4
        .value_kind:     by_value
      - .offset:         4
        .size:           4
        .value_kind:     by_value
      - .offset:         8
        .size:           4
        .value_kind:     by_value
      - .offset:         12
        .size:           4
        .value_kind:     by_value
      - .offset:         16
        .size:           8
        .value_kind:     by_value
      - .offset:         24
        .size:           8
        .value_kind:     by_value
      - .offset:         32
        .size:           8
        .value_kind:     by_value
      - .offset:         40
        .size:           8
        .value_kind:     by_value
      - .offset:         48
        .size:           8
        .value_kind:     by_value
      - .actual_access:  read_only
        .address_space:  global
        .offset:         56
        .size:           8
        .value_kind:     global_buffer
      - .offset:         64
        .size:           8
        .value_kind:     by_value
      - .actual_access:  read_only
        .address_space:  global
        .offset:         72
        .size:           8
        .value_kind:     global_buffer
      - .offset:         80
        .size:           8
        .value_kind:     by_value
      - .offset:         88
        .size:           8
        .value_kind:     by_value
      - .address_space:  global
        .offset:         96
        .size:           8
        .value_kind:     global_buffer
      - .actual_access:  read_only
        .address_space:  global
        .offset:         104
        .size:           8
        .value_kind:     global_buffer
      - .actual_access:  read_only
        .address_space:  global
        .offset:         112
        .size:           8
        .value_kind:     global_buffer
      - .offset:         120
        .size:           4
        .value_kind:     by_value
      - .offset:         124
        .size:           1
        .value_kind:     by_value
    .group_segment_fixed_size: 4096
    .kernarg_segment_align: 8
    .kernarg_segment_size: 128
    .language:       OpenCL C
    .language_version:
      - 2
      - 0
    .max_flat_workgroup_size: 512
    .name:           _ZN9rocsparseL17sddmm_coox_kernelILi512ELi2ELb0EdlldddEEv20rocsparse_operation_S1_16rocsparse_order_S2_T4_S3_S3_T3_NS_24const_host_device_scalarIT2_EEPKT5_lPKT6_lS7_PT7_PKS4_SH_21rocsparse_index_base_b
    .private_segment_fixed_size: 0
    .sgpr_count:     28
    .sgpr_spill_count: 0
    .symbol:         _ZN9rocsparseL17sddmm_coox_kernelILi512ELi2ELb0EdlldddEEv20rocsparse_operation_S1_16rocsparse_order_S2_T4_S3_S3_T3_NS_24const_host_device_scalarIT2_EEPKT5_lPKT6_lS7_PT7_PKS4_SH_21rocsparse_index_base_b.kd
    .uniform_work_group_size: 1
    .uses_dynamic_stack: false
    .vgpr_count:     24
    .vgpr_spill_count: 0
    .wavefront_size: 64
  - .agpr_count:     0
    .args:
      - .offset:         0
        .size:           4
        .value_kind:     by_value
      - .offset:         4
        .size:           4
        .value_kind:     by_value
      - .offset:         8
        .size:           4
        .value_kind:     by_value
      - .offset:         12
        .size:           4
        .value_kind:     by_value
      - .offset:         16
        .size:           8
        .value_kind:     by_value
      - .offset:         24
        .size:           8
        .value_kind:     by_value
      - .offset:         32
        .size:           8
        .value_kind:     by_value
      - .offset:         40
        .size:           8
        .value_kind:     by_value
      - .offset:         48
        .size:           8
        .value_kind:     by_value
      - .actual_access:  read_only
        .address_space:  global
        .offset:         56
        .size:           8
        .value_kind:     global_buffer
      - .offset:         64
        .size:           8
        .value_kind:     by_value
      - .actual_access:  read_only
        .address_space:  global
        .offset:         72
        .size:           8
        .value_kind:     global_buffer
      - .offset:         80
        .size:           8
        .value_kind:     by_value
      - .offset:         88
        .size:           8
        .value_kind:     by_value
      - .address_space:  global
        .offset:         96
        .size:           8
        .value_kind:     global_buffer
      - .actual_access:  read_only
        .address_space:  global
        .offset:         104
        .size:           8
        .value_kind:     global_buffer
      - .actual_access:  read_only
        .address_space:  global
        .offset:         112
        .size:           8
        .value_kind:     global_buffer
      - .offset:         120
        .size:           4
        .value_kind:     by_value
      - .offset:         124
        .size:           1
        .value_kind:     by_value
    .group_segment_fixed_size: 4096
    .kernarg_segment_align: 8
    .kernarg_segment_size: 128
    .language:       OpenCL C
    .language_version:
      - 2
      - 0
    .max_flat_workgroup_size: 512
    .name:           _ZN9rocsparseL17sddmm_coox_kernelILi512ELi1ELb0EdlldddEEv20rocsparse_operation_S1_16rocsparse_order_S2_T4_S3_S3_T3_NS_24const_host_device_scalarIT2_EEPKT5_lPKT6_lS7_PT7_PKS4_SH_21rocsparse_index_base_b
    .private_segment_fixed_size: 0
    .sgpr_count:     26
    .sgpr_spill_count: 0
    .symbol:         _ZN9rocsparseL17sddmm_coox_kernelILi512ELi1ELb0EdlldddEEv20rocsparse_operation_S1_16rocsparse_order_S2_T4_S3_S3_T3_NS_24const_host_device_scalarIT2_EEPKT5_lPKT6_lS7_PT7_PKS4_SH_21rocsparse_index_base_b.kd
    .uniform_work_group_size: 1
    .uses_dynamic_stack: false
    .vgpr_count:     20
    .vgpr_spill_count: 0
    .wavefront_size: 64
  - .agpr_count:     0
    .args:
      - .offset:         0
        .size:           8
        .value_kind:     by_value
      - .offset:         8
        .size:           8
        .value_kind:     by_value
      - .offset:         16
        .size:           8
        .value_kind:     by_value
      - .actual_access:  read_only
        .address_space:  global
        .offset:         24
        .size:           8
        .value_kind:     global_buffer
      - .offset:         32
        .size:           8
        .value_kind:     by_value
      - .actual_access:  write_only
        .address_space:  global
        .offset:         40
        .size:           8
        .value_kind:     global_buffer
      - .actual_access:  read_only
        .address_space:  global
        .offset:         48
        .size:           8
        .value_kind:     global_buffer
      - .actual_access:  read_only
        .address_space:  global
        .offset:         56
        .size:           8
        .value_kind:     global_buffer
      - .offset:         64
        .size:           4
        .value_kind:     by_value
      - .offset:         72
        .size:           4
        .value_kind:     hidden_block_count_x
      - .offset:         76
        .size:           4
        .value_kind:     hidden_block_count_y
      - .offset:         80
        .size:           4
        .value_kind:     hidden_block_count_z
      - .offset:         84
        .size:           2
        .value_kind:     hidden_group_size_x
      - .offset:         86
        .size:           2
        .value_kind:     hidden_group_size_y
      - .offset:         88
        .size:           2
        .value_kind:     hidden_group_size_z
      - .offset:         90
        .size:           2
        .value_kind:     hidden_remainder_x
      - .offset:         92
        .size:           2
        .value_kind:     hidden_remainder_y
      - .offset:         94
        .size:           2
        .value_kind:     hidden_remainder_z
      - .offset:         112
        .size:           8
        .value_kind:     hidden_global_offset_x
      - .offset:         120
        .size:           8
        .value_kind:     hidden_global_offset_y
      - .offset:         128
        .size:           8
        .value_kind:     hidden_global_offset_z
      - .offset:         136
        .size:           2
        .value_kind:     hidden_grid_dims
    .group_segment_fixed_size: 0
    .kernarg_segment_align: 8
    .kernarg_segment_size: 328
    .language:       OpenCL C
    .language_version:
      - 2
      - 0
    .max_flat_workgroup_size: 512
    .name:           _ZN9rocsparseL24sddmm_coox_sample_kernelILi512ELb0E21rocsparse_complex_numIfEllS2_EEvT3_S3_T2_PKT4_S3_PS5_PKS4_SA_21rocsparse_index_base_
    .private_segment_fixed_size: 0
    .sgpr_count:     22
    .sgpr_spill_count: 0
    .symbol:         _ZN9rocsparseL24sddmm_coox_sample_kernelILi512ELb0E21rocsparse_complex_numIfEllS2_EEvT3_S3_T2_PKT4_S3_PS5_PKS4_SA_21rocsparse_index_base_.kd
    .uniform_work_group_size: 1
    .uses_dynamic_stack: false
    .vgpr_count:     18
    .vgpr_spill_count: 0
    .wavefront_size: 64
  - .agpr_count:     0
    .args:
      - .offset:         0
        .size:           4
        .value_kind:     by_value
      - .offset:         4
        .size:           4
        .value_kind:     by_value
      - .offset:         8
        .size:           4
        .value_kind:     by_value
      - .offset:         12
        .size:           4
        .value_kind:     by_value
      - .offset:         16
        .size:           8
        .value_kind:     by_value
      - .offset:         24
        .size:           8
        .value_kind:     by_value
      - .offset:         32
        .size:           8
        .value_kind:     by_value
      - .offset:         40
        .size:           8
        .value_kind:     by_value
      - .offset:         48
        .size:           8
        .value_kind:     by_value
      - .actual_access:  read_only
        .address_space:  global
        .offset:         56
        .size:           8
        .value_kind:     global_buffer
      - .offset:         64
        .size:           8
        .value_kind:     by_value
      - .actual_access:  read_only
        .address_space:  global
        .offset:         72
        .size:           8
        .value_kind:     global_buffer
      - .offset:         80
        .size:           8
        .value_kind:     by_value
      - .offset:         88
        .size:           8
        .value_kind:     by_value
      - .address_space:  global
        .offset:         96
        .size:           8
        .value_kind:     global_buffer
      - .actual_access:  read_only
        .address_space:  global
        .offset:         104
        .size:           8
        .value_kind:     global_buffer
      - .actual_access:  read_only
        .address_space:  global
        .offset:         112
        .size:           8
        .value_kind:     global_buffer
      - .offset:         120
        .size:           4
        .value_kind:     by_value
      - .offset:         124
        .size:           1
        .value_kind:     by_value
    .group_segment_fixed_size: 4096
    .kernarg_segment_align: 8
    .kernarg_segment_size: 128
    .language:       OpenCL C
    .language_version:
      - 2
      - 0
    .max_flat_workgroup_size: 512
    .name:           _ZN9rocsparseL17sddmm_coox_kernelILi512ELi8ELb0E21rocsparse_complex_numIfEllS2_S2_S2_EEv20rocsparse_operation_S3_16rocsparse_order_S4_T4_S5_S5_T3_NS_24const_host_device_scalarIT2_EEPKT5_lPKT6_lS9_PT7_PKS6_SJ_21rocsparse_index_base_b
    .private_segment_fixed_size: 0
    .sgpr_count:     28
    .sgpr_spill_count: 0
    .symbol:         _ZN9rocsparseL17sddmm_coox_kernelILi512ELi8ELb0E21rocsparse_complex_numIfEllS2_S2_S2_EEv20rocsparse_operation_S3_16rocsparse_order_S4_T4_S5_S5_T3_NS_24const_host_device_scalarIT2_EEPKT5_lPKT6_lS9_PT7_PKS6_SJ_21rocsparse_index_base_b.kd
    .uniform_work_group_size: 1
    .uses_dynamic_stack: false
    .vgpr_count:     26
    .vgpr_spill_count: 0
    .wavefront_size: 64
  - .agpr_count:     0
    .args:
      - .offset:         0
        .size:           4
        .value_kind:     by_value
      - .offset:         4
        .size:           4
        .value_kind:     by_value
      - .offset:         8
        .size:           4
        .value_kind:     by_value
      - .offset:         12
        .size:           4
        .value_kind:     by_value
      - .offset:         16
        .size:           8
        .value_kind:     by_value
      - .offset:         24
        .size:           8
        .value_kind:     by_value
      - .offset:         32
        .size:           8
        .value_kind:     by_value
      - .offset:         40
        .size:           8
        .value_kind:     by_value
      - .offset:         48
        .size:           8
        .value_kind:     by_value
      - .actual_access:  read_only
        .address_space:  global
        .offset:         56
        .size:           8
        .value_kind:     global_buffer
      - .offset:         64
        .size:           8
        .value_kind:     by_value
      - .actual_access:  read_only
        .address_space:  global
        .offset:         72
        .size:           8
        .value_kind:     global_buffer
      - .offset:         80
        .size:           8
        .value_kind:     by_value
      - .offset:         88
        .size:           8
        .value_kind:     by_value
      - .address_space:  global
        .offset:         96
        .size:           8
        .value_kind:     global_buffer
      - .actual_access:  read_only
        .address_space:  global
        .offset:         104
        .size:           8
        .value_kind:     global_buffer
      - .actual_access:  read_only
        .address_space:  global
        .offset:         112
        .size:           8
        .value_kind:     global_buffer
      - .offset:         120
        .size:           4
        .value_kind:     by_value
      - .offset:         124
        .size:           1
        .value_kind:     by_value
    .group_segment_fixed_size: 4096
    .kernarg_segment_align: 8
    .kernarg_segment_size: 128
    .language:       OpenCL C
    .language_version:
      - 2
      - 0
    .max_flat_workgroup_size: 512
    .name:           _ZN9rocsparseL17sddmm_coox_kernelILi512ELi4ELb0E21rocsparse_complex_numIfEllS2_S2_S2_EEv20rocsparse_operation_S3_16rocsparse_order_S4_T4_S5_S5_T3_NS_24const_host_device_scalarIT2_EEPKT5_lPKT6_lS9_PT7_PKS6_SJ_21rocsparse_index_base_b
    .private_segment_fixed_size: 0
    .sgpr_count:     28
    .sgpr_spill_count: 0
    .symbol:         _ZN9rocsparseL17sddmm_coox_kernelILi512ELi4ELb0E21rocsparse_complex_numIfEllS2_S2_S2_EEv20rocsparse_operation_S3_16rocsparse_order_S4_T4_S5_S5_T3_NS_24const_host_device_scalarIT2_EEPKT5_lPKT6_lS9_PT7_PKS6_SJ_21rocsparse_index_base_b.kd
    .uniform_work_group_size: 1
    .uses_dynamic_stack: false
    .vgpr_count:     26
    .vgpr_spill_count: 0
    .wavefront_size: 64
  - .agpr_count:     0
    .args:
      - .offset:         0
        .size:           4
        .value_kind:     by_value
      - .offset:         4
        .size:           4
        .value_kind:     by_value
      - .offset:         8
        .size:           4
        .value_kind:     by_value
      - .offset:         12
        .size:           4
        .value_kind:     by_value
      - .offset:         16
        .size:           8
        .value_kind:     by_value
      - .offset:         24
        .size:           8
        .value_kind:     by_value
      - .offset:         32
        .size:           8
        .value_kind:     by_value
      - .offset:         40
        .size:           8
        .value_kind:     by_value
      - .offset:         48
        .size:           8
        .value_kind:     by_value
      - .actual_access:  read_only
        .address_space:  global
        .offset:         56
        .size:           8
        .value_kind:     global_buffer
      - .offset:         64
        .size:           8
        .value_kind:     by_value
      - .actual_access:  read_only
        .address_space:  global
        .offset:         72
        .size:           8
        .value_kind:     global_buffer
      - .offset:         80
        .size:           8
        .value_kind:     by_value
      - .offset:         88
        .size:           8
        .value_kind:     by_value
      - .address_space:  global
        .offset:         96
        .size:           8
        .value_kind:     global_buffer
      - .actual_access:  read_only
        .address_space:  global
        .offset:         104
        .size:           8
        .value_kind:     global_buffer
      - .actual_access:  read_only
        .address_space:  global
        .offset:         112
        .size:           8
        .value_kind:     global_buffer
      - .offset:         120
        .size:           4
        .value_kind:     by_value
      - .offset:         124
        .size:           1
        .value_kind:     by_value
    .group_segment_fixed_size: 4096
    .kernarg_segment_align: 8
    .kernarg_segment_size: 128
    .language:       OpenCL C
    .language_version:
      - 2
      - 0
    .max_flat_workgroup_size: 512
    .name:           _ZN9rocsparseL17sddmm_coox_kernelILi512ELi2ELb0E21rocsparse_complex_numIfEllS2_S2_S2_EEv20rocsparse_operation_S3_16rocsparse_order_S4_T4_S5_S5_T3_NS_24const_host_device_scalarIT2_EEPKT5_lPKT6_lS9_PT7_PKS6_SJ_21rocsparse_index_base_b
    .private_segment_fixed_size: 0
    .sgpr_count:     28
    .sgpr_spill_count: 0
    .symbol:         _ZN9rocsparseL17sddmm_coox_kernelILi512ELi2ELb0E21rocsparse_complex_numIfEllS2_S2_S2_EEv20rocsparse_operation_S3_16rocsparse_order_S4_T4_S5_S5_T3_NS_24const_host_device_scalarIT2_EEPKT5_lPKT6_lS9_PT7_PKS6_SJ_21rocsparse_index_base_b.kd
    .uniform_work_group_size: 1
    .uses_dynamic_stack: false
    .vgpr_count:     26
    .vgpr_spill_count: 0
    .wavefront_size: 64
  - .agpr_count:     0
    .args:
      - .offset:         0
        .size:           4
        .value_kind:     by_value
      - .offset:         4
        .size:           4
        .value_kind:     by_value
      - .offset:         8
        .size:           4
        .value_kind:     by_value
      - .offset:         12
        .size:           4
        .value_kind:     by_value
      - .offset:         16
        .size:           8
        .value_kind:     by_value
      - .offset:         24
        .size:           8
        .value_kind:     by_value
      - .offset:         32
        .size:           8
        .value_kind:     by_value
      - .offset:         40
        .size:           8
        .value_kind:     by_value
      - .offset:         48
        .size:           8
        .value_kind:     by_value
      - .actual_access:  read_only
        .address_space:  global
        .offset:         56
        .size:           8
        .value_kind:     global_buffer
      - .offset:         64
        .size:           8
        .value_kind:     by_value
      - .actual_access:  read_only
        .address_space:  global
        .offset:         72
        .size:           8
        .value_kind:     global_buffer
      - .offset:         80
        .size:           8
        .value_kind:     by_value
      - .offset:         88
        .size:           8
        .value_kind:     by_value
      - .address_space:  global
        .offset:         96
        .size:           8
        .value_kind:     global_buffer
      - .actual_access:  read_only
        .address_space:  global
        .offset:         104
        .size:           8
        .value_kind:     global_buffer
      - .actual_access:  read_only
        .address_space:  global
        .offset:         112
        .size:           8
        .value_kind:     global_buffer
      - .offset:         120
        .size:           4
        .value_kind:     by_value
      - .offset:         124
        .size:           1
        .value_kind:     by_value
    .group_segment_fixed_size: 4096
    .kernarg_segment_align: 8
    .kernarg_segment_size: 128
    .language:       OpenCL C
    .language_version:
      - 2
      - 0
    .max_flat_workgroup_size: 512
    .name:           _ZN9rocsparseL17sddmm_coox_kernelILi512ELi1ELb0E21rocsparse_complex_numIfEllS2_S2_S2_EEv20rocsparse_operation_S3_16rocsparse_order_S4_T4_S5_S5_T3_NS_24const_host_device_scalarIT2_EEPKT5_lPKT6_lS9_PT7_PKS6_SJ_21rocsparse_index_base_b
    .private_segment_fixed_size: 0
    .sgpr_count:     26
    .sgpr_spill_count: 0
    .symbol:         _ZN9rocsparseL17sddmm_coox_kernelILi512ELi1ELb0E21rocsparse_complex_numIfEllS2_S2_S2_EEv20rocsparse_operation_S3_16rocsparse_order_S4_T4_S5_S5_T3_NS_24const_host_device_scalarIT2_EEPKT5_lPKT6_lS9_PT7_PKS6_SJ_21rocsparse_index_base_b.kd
    .uniform_work_group_size: 1
    .uses_dynamic_stack: false
    .vgpr_count:     22
    .vgpr_spill_count: 0
    .wavefront_size: 64
  - .agpr_count:     0
    .args:
      - .offset:         0
        .size:           8
        .value_kind:     by_value
      - .offset:         8
        .size:           8
        .value_kind:     by_value
      - .offset:         16
        .size:           8
        .value_kind:     by_value
      - .actual_access:  read_only
        .address_space:  global
        .offset:         24
        .size:           8
        .value_kind:     global_buffer
      - .offset:         32
        .size:           8
        .value_kind:     by_value
      - .actual_access:  write_only
        .address_space:  global
        .offset:         40
        .size:           8
        .value_kind:     global_buffer
      - .actual_access:  read_only
        .address_space:  global
        .offset:         48
        .size:           8
        .value_kind:     global_buffer
      - .actual_access:  read_only
        .address_space:  global
        .offset:         56
        .size:           8
        .value_kind:     global_buffer
      - .offset:         64
        .size:           4
        .value_kind:     by_value
      - .offset:         72
        .size:           4
        .value_kind:     hidden_block_count_x
      - .offset:         76
        .size:           4
        .value_kind:     hidden_block_count_y
      - .offset:         80
        .size:           4
        .value_kind:     hidden_block_count_z
      - .offset:         84
        .size:           2
        .value_kind:     hidden_group_size_x
      - .offset:         86
        .size:           2
        .value_kind:     hidden_group_size_y
      - .offset:         88
        .size:           2
        .value_kind:     hidden_group_size_z
      - .offset:         90
        .size:           2
        .value_kind:     hidden_remainder_x
      - .offset:         92
        .size:           2
        .value_kind:     hidden_remainder_y
      - .offset:         94
        .size:           2
        .value_kind:     hidden_remainder_z
      - .offset:         112
        .size:           8
        .value_kind:     hidden_global_offset_x
      - .offset:         120
        .size:           8
        .value_kind:     hidden_global_offset_y
      - .offset:         128
        .size:           8
        .value_kind:     hidden_global_offset_z
      - .offset:         136
        .size:           2
        .value_kind:     hidden_grid_dims
    .group_segment_fixed_size: 0
    .kernarg_segment_align: 8
    .kernarg_segment_size: 328
    .language:       OpenCL C
    .language_version:
      - 2
      - 0
    .max_flat_workgroup_size: 512
    .name:           _ZN9rocsparseL24sddmm_coox_sample_kernelILi512ELb0E21rocsparse_complex_numIdEllS2_EEvT3_S3_T2_PKT4_S3_PS5_PKS4_SA_21rocsparse_index_base_
    .private_segment_fixed_size: 0
    .sgpr_count:     22
    .sgpr_spill_count: 0
    .symbol:         _ZN9rocsparseL24sddmm_coox_sample_kernelILi512ELb0E21rocsparse_complex_numIdEllS2_EEvT3_S3_T2_PKT4_S3_PS5_PKS4_SA_21rocsparse_index_base_.kd
    .uniform_work_group_size: 1
    .uses_dynamic_stack: false
    .vgpr_count:     18
    .vgpr_spill_count: 0
    .wavefront_size: 64
  - .agpr_count:     0
    .args:
      - .offset:         0
        .size:           4
        .value_kind:     by_value
      - .offset:         4
        .size:           4
        .value_kind:     by_value
      - .offset:         8
        .size:           4
        .value_kind:     by_value
      - .offset:         12
        .size:           4
        .value_kind:     by_value
      - .offset:         16
        .size:           8
        .value_kind:     by_value
      - .offset:         24
        .size:           8
        .value_kind:     by_value
      - .offset:         32
        .size:           8
        .value_kind:     by_value
      - .offset:         40
        .size:           8
        .value_kind:     by_value
      - .offset:         48
        .size:           16
        .value_kind:     by_value
      - .actual_access:  read_only
        .address_space:  global
        .offset:         64
        .size:           8
        .value_kind:     global_buffer
      - .offset:         72
        .size:           8
        .value_kind:     by_value
      - .actual_access:  read_only
        .address_space:  global
        .offset:         80
        .size:           8
        .value_kind:     global_buffer
      - .offset:         88
        .size:           8
        .value_kind:     by_value
      - .offset:         96
        .size:           16
        .value_kind:     by_value
      - .address_space:  global
        .offset:         112
        .size:           8
        .value_kind:     global_buffer
      - .actual_access:  read_only
        .address_space:  global
        .offset:         120
        .size:           8
        .value_kind:     global_buffer
      - .actual_access:  read_only
        .address_space:  global
        .offset:         128
        .size:           8
        .value_kind:     global_buffer
      - .offset:         136
        .size:           4
        .value_kind:     by_value
      - .offset:         140
        .size:           1
        .value_kind:     by_value
    .group_segment_fixed_size: 16384
    .kernarg_segment_align: 8
    .kernarg_segment_size: 144
    .language:       OpenCL C
    .language_version:
      - 2
      - 0
    .max_flat_workgroup_size: 512
    .name:           _ZN9rocsparseL17sddmm_coox_kernelILi512ELi8ELb0E21rocsparse_complex_numIdEllS2_S2_S2_EEv20rocsparse_operation_S3_16rocsparse_order_S4_T4_S5_S5_T3_NS_24const_host_device_scalarIT2_EEPKT5_lPKT6_lS9_PT7_PKS6_SJ_21rocsparse_index_base_b
    .private_segment_fixed_size: 0
    .sgpr_count:     30
    .sgpr_spill_count: 0
    .symbol:         _ZN9rocsparseL17sddmm_coox_kernelILi512ELi8ELb0E21rocsparse_complex_numIdEllS2_S2_S2_EEv20rocsparse_operation_S3_16rocsparse_order_S4_T4_S5_S5_T3_NS_24const_host_device_scalarIT2_EEPKT5_lPKT6_lS9_PT7_PKS6_SJ_21rocsparse_index_base_b.kd
    .uniform_work_group_size: 1
    .uses_dynamic_stack: false
    .vgpr_count:     36
    .vgpr_spill_count: 0
    .wavefront_size: 64
  - .agpr_count:     0
    .args:
      - .offset:         0
        .size:           4
        .value_kind:     by_value
      - .offset:         4
        .size:           4
        .value_kind:     by_value
      - .offset:         8
        .size:           4
        .value_kind:     by_value
      - .offset:         12
        .size:           4
        .value_kind:     by_value
      - .offset:         16
        .size:           8
        .value_kind:     by_value
      - .offset:         24
        .size:           8
        .value_kind:     by_value
      - .offset:         32
        .size:           8
        .value_kind:     by_value
      - .offset:         40
        .size:           8
        .value_kind:     by_value
      - .offset:         48
        .size:           16
        .value_kind:     by_value
      - .actual_access:  read_only
        .address_space:  global
        .offset:         64
        .size:           8
        .value_kind:     global_buffer
      - .offset:         72
        .size:           8
        .value_kind:     by_value
      - .actual_access:  read_only
        .address_space:  global
        .offset:         80
        .size:           8
        .value_kind:     global_buffer
      - .offset:         88
        .size:           8
        .value_kind:     by_value
      - .offset:         96
        .size:           16
        .value_kind:     by_value
      - .address_space:  global
        .offset:         112
        .size:           8
        .value_kind:     global_buffer
      - .actual_access:  read_only
        .address_space:  global
        .offset:         120
        .size:           8
        .value_kind:     global_buffer
      - .actual_access:  read_only
        .address_space:  global
        .offset:         128
        .size:           8
        .value_kind:     global_buffer
      - .offset:         136
        .size:           4
        .value_kind:     by_value
      - .offset:         140
        .size:           1
        .value_kind:     by_value
    .group_segment_fixed_size: 16384
    .kernarg_segment_align: 8
    .kernarg_segment_size: 144
    .language:       OpenCL C
    .language_version:
      - 2
      - 0
    .max_flat_workgroup_size: 512
    .name:           _ZN9rocsparseL17sddmm_coox_kernelILi512ELi4ELb0E21rocsparse_complex_numIdEllS2_S2_S2_EEv20rocsparse_operation_S3_16rocsparse_order_S4_T4_S5_S5_T3_NS_24const_host_device_scalarIT2_EEPKT5_lPKT6_lS9_PT7_PKS6_SJ_21rocsparse_index_base_b
    .private_segment_fixed_size: 0
    .sgpr_count:     30
    .sgpr_spill_count: 0
    .symbol:         _ZN9rocsparseL17sddmm_coox_kernelILi512ELi4ELb0E21rocsparse_complex_numIdEllS2_S2_S2_EEv20rocsparse_operation_S3_16rocsparse_order_S4_T4_S5_S5_T3_NS_24const_host_device_scalarIT2_EEPKT5_lPKT6_lS9_PT7_PKS6_SJ_21rocsparse_index_base_b.kd
    .uniform_work_group_size: 1
    .uses_dynamic_stack: false
    .vgpr_count:     36
    .vgpr_spill_count: 0
    .wavefront_size: 64
  - .agpr_count:     0
    .args:
      - .offset:         0
        .size:           4
        .value_kind:     by_value
      - .offset:         4
        .size:           4
        .value_kind:     by_value
      - .offset:         8
        .size:           4
        .value_kind:     by_value
      - .offset:         12
        .size:           4
        .value_kind:     by_value
      - .offset:         16
        .size:           8
        .value_kind:     by_value
      - .offset:         24
        .size:           8
        .value_kind:     by_value
      - .offset:         32
        .size:           8
        .value_kind:     by_value
      - .offset:         40
        .size:           8
        .value_kind:     by_value
      - .offset:         48
        .size:           16
        .value_kind:     by_value
      - .actual_access:  read_only
        .address_space:  global
        .offset:         64
        .size:           8
        .value_kind:     global_buffer
      - .offset:         72
        .size:           8
        .value_kind:     by_value
      - .actual_access:  read_only
        .address_space:  global
        .offset:         80
        .size:           8
        .value_kind:     global_buffer
      - .offset:         88
        .size:           8
        .value_kind:     by_value
      - .offset:         96
        .size:           16
        .value_kind:     by_value
      - .address_space:  global
        .offset:         112
        .size:           8
        .value_kind:     global_buffer
      - .actual_access:  read_only
        .address_space:  global
        .offset:         120
        .size:           8
        .value_kind:     global_buffer
      - .actual_access:  read_only
        .address_space:  global
        .offset:         128
        .size:           8
        .value_kind:     global_buffer
      - .offset:         136
        .size:           4
        .value_kind:     by_value
      - .offset:         140
        .size:           1
        .value_kind:     by_value
    .group_segment_fixed_size: 16384
    .kernarg_segment_align: 8
    .kernarg_segment_size: 144
    .language:       OpenCL C
    .language_version:
      - 2
      - 0
    .max_flat_workgroup_size: 512
    .name:           _ZN9rocsparseL17sddmm_coox_kernelILi512ELi2ELb0E21rocsparse_complex_numIdEllS2_S2_S2_EEv20rocsparse_operation_S3_16rocsparse_order_S4_T4_S5_S5_T3_NS_24const_host_device_scalarIT2_EEPKT5_lPKT6_lS9_PT7_PKS6_SJ_21rocsparse_index_base_b
    .private_segment_fixed_size: 0
    .sgpr_count:     30
    .sgpr_spill_count: 0
    .symbol:         _ZN9rocsparseL17sddmm_coox_kernelILi512ELi2ELb0E21rocsparse_complex_numIdEllS2_S2_S2_EEv20rocsparse_operation_S3_16rocsparse_order_S4_T4_S5_S5_T3_NS_24const_host_device_scalarIT2_EEPKT5_lPKT6_lS9_PT7_PKS6_SJ_21rocsparse_index_base_b.kd
    .uniform_work_group_size: 1
    .uses_dynamic_stack: false
    .vgpr_count:     36
    .vgpr_spill_count: 0
    .wavefront_size: 64
  - .agpr_count:     0
    .args:
      - .offset:         0
        .size:           4
        .value_kind:     by_value
      - .offset:         4
        .size:           4
        .value_kind:     by_value
      - .offset:         8
        .size:           4
        .value_kind:     by_value
      - .offset:         12
        .size:           4
        .value_kind:     by_value
      - .offset:         16
        .size:           8
        .value_kind:     by_value
      - .offset:         24
        .size:           8
        .value_kind:     by_value
      - .offset:         32
        .size:           8
        .value_kind:     by_value
      - .offset:         40
        .size:           8
        .value_kind:     by_value
      - .offset:         48
        .size:           16
        .value_kind:     by_value
      - .actual_access:  read_only
        .address_space:  global
        .offset:         64
        .size:           8
        .value_kind:     global_buffer
      - .offset:         72
        .size:           8
        .value_kind:     by_value
      - .actual_access:  read_only
        .address_space:  global
        .offset:         80
        .size:           8
        .value_kind:     global_buffer
      - .offset:         88
        .size:           8
        .value_kind:     by_value
      - .offset:         96
        .size:           16
        .value_kind:     by_value
      - .address_space:  global
        .offset:         112
        .size:           8
        .value_kind:     global_buffer
      - .actual_access:  read_only
        .address_space:  global
        .offset:         120
        .size:           8
        .value_kind:     global_buffer
      - .actual_access:  read_only
        .address_space:  global
        .offset:         128
        .size:           8
        .value_kind:     global_buffer
      - .offset:         136
        .size:           4
        .value_kind:     by_value
      - .offset:         140
        .size:           1
        .value_kind:     by_value
    .group_segment_fixed_size: 16384
    .kernarg_segment_align: 8
    .kernarg_segment_size: 144
    .language:       OpenCL C
    .language_version:
      - 2
      - 0
    .max_flat_workgroup_size: 512
    .name:           _ZN9rocsparseL17sddmm_coox_kernelILi512ELi1ELb0E21rocsparse_complex_numIdEllS2_S2_S2_EEv20rocsparse_operation_S3_16rocsparse_order_S4_T4_S5_S5_T3_NS_24const_host_device_scalarIT2_EEPKT5_lPKT6_lS9_PT7_PKS6_SJ_21rocsparse_index_base_b
    .private_segment_fixed_size: 0
    .sgpr_count:     30
    .sgpr_spill_count: 0
    .symbol:         _ZN9rocsparseL17sddmm_coox_kernelILi512ELi1ELb0E21rocsparse_complex_numIdEllS2_S2_S2_EEv20rocsparse_operation_S3_16rocsparse_order_S4_T4_S5_S5_T3_NS_24const_host_device_scalarIT2_EEPKT5_lPKT6_lS9_PT7_PKS6_SJ_21rocsparse_index_base_b.kd
    .uniform_work_group_size: 1
    .uses_dynamic_stack: false
    .vgpr_count:     32
    .vgpr_spill_count: 0
    .wavefront_size: 64
  - .agpr_count:     0
    .args:
      - .offset:         0
        .size:           4
        .value_kind:     by_value
      - .offset:         4
        .size:           4
        .value_kind:     by_value
      - .offset:         8
        .size:           4
        .value_kind:     by_value
      - .offset:         12
        .size:           4
        .value_kind:     by_value
      - .offset:         16
        .size:           4
        .value_kind:     by_value
      - .offset:         20
        .size:           4
        .value_kind:     by_value
      - .offset:         24
        .size:           4
        .value_kind:     by_value
      - .offset:         28
        .size:           4
        .value_kind:     by_value
      - .offset:         32
        .size:           8
        .value_kind:     by_value
      - .actual_access:  read_only
        .address_space:  global
        .offset:         40
        .size:           8
        .value_kind:     global_buffer
      - .offset:         48
        .size:           8
        .value_kind:     by_value
      - .actual_access:  read_only
        .address_space:  global
        .offset:         56
        .size:           8
        .value_kind:     global_buffer
      - .offset:         64
        .size:           8
        .value_kind:     by_value
      - .offset:         72
        .size:           8
        .value_kind:     by_value
      - .address_space:  global
        .offset:         80
        .size:           8
        .value_kind:     global_buffer
      - .actual_access:  read_only
        .address_space:  global
        .offset:         88
        .size:           8
        .value_kind:     global_buffer
      - .actual_access:  read_only
        .address_space:  global
        .offset:         96
        .size:           8
        .value_kind:     global_buffer
      - .offset:         104
        .size:           4
        .value_kind:     by_value
      - .offset:         108
        .size:           1
        .value_kind:     by_value
    .group_segment_fixed_size: 2048
    .kernarg_segment_align: 8
    .kernarg_segment_size: 112
    .language:       OpenCL C
    .language_version:
      - 2
      - 0
    .max_flat_workgroup_size: 512
    .name:           _ZN9rocsparseL17sddmm_coox_kernelILi512ELi8ELb0EfiiDF16_DF16_fEEv20rocsparse_operation_S1_16rocsparse_order_S2_T4_S3_S3_T3_NS_24const_host_device_scalarIT2_EEPKT5_lPKT6_lS7_PT7_PKS4_SH_21rocsparse_index_base_b
    .private_segment_fixed_size: 0
    .sgpr_count:     32
    .sgpr_spill_count: 0
    .symbol:         _ZN9rocsparseL17sddmm_coox_kernelILi512ELi8ELb0EfiiDF16_DF16_fEEv20rocsparse_operation_S1_16rocsparse_order_S2_T4_S3_S3_T3_NS_24const_host_device_scalarIT2_EEPKT5_lPKT6_lS7_PT7_PKS4_SH_21rocsparse_index_base_b.kd
    .uniform_work_group_size: 1
    .uses_dynamic_stack: false
    .vgpr_count:     16
    .vgpr_spill_count: 0
    .wavefront_size: 64
  - .agpr_count:     0
    .args:
      - .offset:         0
        .size:           4
        .value_kind:     by_value
      - .offset:         4
        .size:           4
        .value_kind:     by_value
      - .offset:         8
        .size:           4
        .value_kind:     by_value
      - .offset:         12
        .size:           4
        .value_kind:     by_value
      - .offset:         16
        .size:           4
        .value_kind:     by_value
      - .offset:         20
        .size:           4
        .value_kind:     by_value
      - .offset:         24
        .size:           4
        .value_kind:     by_value
      - .offset:         28
        .size:           4
        .value_kind:     by_value
      - .offset:         32
        .size:           8
        .value_kind:     by_value
      - .actual_access:  read_only
        .address_space:  global
        .offset:         40
        .size:           8
        .value_kind:     global_buffer
      - .offset:         48
        .size:           8
        .value_kind:     by_value
      - .actual_access:  read_only
        .address_space:  global
        .offset:         56
        .size:           8
        .value_kind:     global_buffer
      - .offset:         64
        .size:           8
        .value_kind:     by_value
      - .offset:         72
        .size:           8
        .value_kind:     by_value
      - .address_space:  global
        .offset:         80
        .size:           8
        .value_kind:     global_buffer
      - .actual_access:  read_only
        .address_space:  global
        .offset:         88
        .size:           8
        .value_kind:     global_buffer
      - .actual_access:  read_only
        .address_space:  global
        .offset:         96
        .size:           8
        .value_kind:     global_buffer
      - .offset:         104
        .size:           4
        .value_kind:     by_value
      - .offset:         108
        .size:           1
        .value_kind:     by_value
    .group_segment_fixed_size: 2048
    .kernarg_segment_align: 8
    .kernarg_segment_size: 112
    .language:       OpenCL C
    .language_version:
      - 2
      - 0
    .max_flat_workgroup_size: 512
    .name:           _ZN9rocsparseL17sddmm_coox_kernelILi512ELi4ELb0EfiiDF16_DF16_fEEv20rocsparse_operation_S1_16rocsparse_order_S2_T4_S3_S3_T3_NS_24const_host_device_scalarIT2_EEPKT5_lPKT6_lS7_PT7_PKS4_SH_21rocsparse_index_base_b
    .private_segment_fixed_size: 0
    .sgpr_count:     32
    .sgpr_spill_count: 0
    .symbol:         _ZN9rocsparseL17sddmm_coox_kernelILi512ELi4ELb0EfiiDF16_DF16_fEEv20rocsparse_operation_S1_16rocsparse_order_S2_T4_S3_S3_T3_NS_24const_host_device_scalarIT2_EEPKT5_lPKT6_lS7_PT7_PKS4_SH_21rocsparse_index_base_b.kd
    .uniform_work_group_size: 1
    .uses_dynamic_stack: false
    .vgpr_count:     16
    .vgpr_spill_count: 0
    .wavefront_size: 64
  - .agpr_count:     0
    .args:
      - .offset:         0
        .size:           4
        .value_kind:     by_value
      - .offset:         4
        .size:           4
        .value_kind:     by_value
      - .offset:         8
        .size:           4
        .value_kind:     by_value
      - .offset:         12
        .size:           4
        .value_kind:     by_value
      - .offset:         16
        .size:           4
        .value_kind:     by_value
      - .offset:         20
        .size:           4
        .value_kind:     by_value
      - .offset:         24
        .size:           4
        .value_kind:     by_value
      - .offset:         28
        .size:           4
        .value_kind:     by_value
      - .offset:         32
        .size:           8
        .value_kind:     by_value
      - .actual_access:  read_only
        .address_space:  global
        .offset:         40
        .size:           8
        .value_kind:     global_buffer
      - .offset:         48
        .size:           8
        .value_kind:     by_value
      - .actual_access:  read_only
        .address_space:  global
        .offset:         56
        .size:           8
        .value_kind:     global_buffer
      - .offset:         64
        .size:           8
        .value_kind:     by_value
      - .offset:         72
        .size:           8
        .value_kind:     by_value
      - .address_space:  global
        .offset:         80
        .size:           8
        .value_kind:     global_buffer
      - .actual_access:  read_only
        .address_space:  global
        .offset:         88
        .size:           8
        .value_kind:     global_buffer
      - .actual_access:  read_only
        .address_space:  global
        .offset:         96
        .size:           8
        .value_kind:     global_buffer
      - .offset:         104
        .size:           4
        .value_kind:     by_value
      - .offset:         108
        .size:           1
        .value_kind:     by_value
    .group_segment_fixed_size: 2048
    .kernarg_segment_align: 8
    .kernarg_segment_size: 112
    .language:       OpenCL C
    .language_version:
      - 2
      - 0
    .max_flat_workgroup_size: 512
    .name:           _ZN9rocsparseL17sddmm_coox_kernelILi512ELi2ELb0EfiiDF16_DF16_fEEv20rocsparse_operation_S1_16rocsparse_order_S2_T4_S3_S3_T3_NS_24const_host_device_scalarIT2_EEPKT5_lPKT6_lS7_PT7_PKS4_SH_21rocsparse_index_base_b
    .private_segment_fixed_size: 0
    .sgpr_count:     32
    .sgpr_spill_count: 0
    .symbol:         _ZN9rocsparseL17sddmm_coox_kernelILi512ELi2ELb0EfiiDF16_DF16_fEEv20rocsparse_operation_S1_16rocsparse_order_S2_T4_S3_S3_T3_NS_24const_host_device_scalarIT2_EEPKT5_lPKT6_lS7_PT7_PKS4_SH_21rocsparse_index_base_b.kd
    .uniform_work_group_size: 1
    .uses_dynamic_stack: false
    .vgpr_count:     16
    .vgpr_spill_count: 0
    .wavefront_size: 64
  - .agpr_count:     0
    .args:
      - .offset:         0
        .size:           4
        .value_kind:     by_value
      - .offset:         4
        .size:           4
        .value_kind:     by_value
      - .offset:         8
        .size:           4
        .value_kind:     by_value
      - .offset:         12
        .size:           4
        .value_kind:     by_value
      - .offset:         16
        .size:           4
        .value_kind:     by_value
      - .offset:         20
        .size:           4
        .value_kind:     by_value
      - .offset:         24
        .size:           4
        .value_kind:     by_value
      - .offset:         28
        .size:           4
        .value_kind:     by_value
      - .offset:         32
        .size:           8
        .value_kind:     by_value
      - .actual_access:  read_only
        .address_space:  global
        .offset:         40
        .size:           8
        .value_kind:     global_buffer
      - .offset:         48
        .size:           8
        .value_kind:     by_value
      - .actual_access:  read_only
        .address_space:  global
        .offset:         56
        .size:           8
        .value_kind:     global_buffer
      - .offset:         64
        .size:           8
        .value_kind:     by_value
      - .offset:         72
        .size:           8
        .value_kind:     by_value
      - .address_space:  global
        .offset:         80
        .size:           8
        .value_kind:     global_buffer
      - .actual_access:  read_only
        .address_space:  global
        .offset:         88
        .size:           8
        .value_kind:     global_buffer
      - .actual_access:  read_only
        .address_space:  global
        .offset:         96
        .size:           8
        .value_kind:     global_buffer
      - .offset:         104
        .size:           4
        .value_kind:     by_value
      - .offset:         108
        .size:           1
        .value_kind:     by_value
    .group_segment_fixed_size: 2048
    .kernarg_segment_align: 8
    .kernarg_segment_size: 112
    .language:       OpenCL C
    .language_version:
      - 2
      - 0
    .max_flat_workgroup_size: 512
    .name:           _ZN9rocsparseL17sddmm_coox_kernelILi512ELi1ELb0EfiiDF16_DF16_fEEv20rocsparse_operation_S1_16rocsparse_order_S2_T4_S3_S3_T3_NS_24const_host_device_scalarIT2_EEPKT5_lPKT6_lS7_PT7_PKS4_SH_21rocsparse_index_base_b
    .private_segment_fixed_size: 0
    .sgpr_count:     30
    .sgpr_spill_count: 0
    .symbol:         _ZN9rocsparseL17sddmm_coox_kernelILi512ELi1ELb0EfiiDF16_DF16_fEEv20rocsparse_operation_S1_16rocsparse_order_S2_T4_S3_S3_T3_NS_24const_host_device_scalarIT2_EEPKT5_lPKT6_lS7_PT7_PKS4_SH_21rocsparse_index_base_b.kd
    .uniform_work_group_size: 1
    .uses_dynamic_stack: false
    .vgpr_count:     12
    .vgpr_spill_count: 0
    .wavefront_size: 64
  - .agpr_count:     0
    .args:
      - .offset:         0
        .size:           4
        .value_kind:     by_value
      - .offset:         4
        .size:           4
        .value_kind:     by_value
      - .offset:         8
        .size:           4
        .value_kind:     by_value
      - .offset:         12
        .size:           4
        .value_kind:     by_value
      - .offset:         16
        .size:           8
        .value_kind:     by_value
      - .offset:         24
        .size:           8
        .value_kind:     by_value
      - .offset:         32
        .size:           8
        .value_kind:     by_value
      - .offset:         40
        .size:           8
        .value_kind:     by_value
      - .offset:         48
        .size:           8
        .value_kind:     by_value
      - .actual_access:  read_only
        .address_space:  global
        .offset:         56
        .size:           8
        .value_kind:     global_buffer
      - .offset:         64
        .size:           8
        .value_kind:     by_value
      - .actual_access:  read_only
        .address_space:  global
        .offset:         72
        .size:           8
        .value_kind:     global_buffer
      - .offset:         80
        .size:           8
        .value_kind:     by_value
      - .offset:         88
        .size:           8
        .value_kind:     by_value
      - .address_space:  global
        .offset:         96
        .size:           8
        .value_kind:     global_buffer
      - .actual_access:  read_only
        .address_space:  global
        .offset:         104
        .size:           8
        .value_kind:     global_buffer
      - .actual_access:  read_only
        .address_space:  global
        .offset:         112
        .size:           8
        .value_kind:     global_buffer
      - .offset:         120
        .size:           4
        .value_kind:     by_value
      - .offset:         124
        .size:           1
        .value_kind:     by_value
    .group_segment_fixed_size: 2048
    .kernarg_segment_align: 8
    .kernarg_segment_size: 128
    .language:       OpenCL C
    .language_version:
      - 2
      - 0
    .max_flat_workgroup_size: 512
    .name:           _ZN9rocsparseL17sddmm_coox_kernelILi512ELi8ELb0EfllDF16_DF16_fEEv20rocsparse_operation_S1_16rocsparse_order_S2_T4_S3_S3_T3_NS_24const_host_device_scalarIT2_EEPKT5_lPKT6_lS7_PT7_PKS4_SH_21rocsparse_index_base_b
    .private_segment_fixed_size: 0
    .sgpr_count:     32
    .sgpr_spill_count: 0
    .symbol:         _ZN9rocsparseL17sddmm_coox_kernelILi512ELi8ELb0EfllDF16_DF16_fEEv20rocsparse_operation_S1_16rocsparse_order_S2_T4_S3_S3_T3_NS_24const_host_device_scalarIT2_EEPKT5_lPKT6_lS7_PT7_PKS4_SH_21rocsparse_index_base_b.kd
    .uniform_work_group_size: 1
    .uses_dynamic_stack: false
    .vgpr_count:     15
    .vgpr_spill_count: 0
    .wavefront_size: 64
  - .agpr_count:     0
    .args:
      - .offset:         0
        .size:           4
        .value_kind:     by_value
      - .offset:         4
        .size:           4
        .value_kind:     by_value
      - .offset:         8
        .size:           4
        .value_kind:     by_value
      - .offset:         12
        .size:           4
        .value_kind:     by_value
      - .offset:         16
        .size:           8
        .value_kind:     by_value
      - .offset:         24
        .size:           8
        .value_kind:     by_value
      - .offset:         32
        .size:           8
        .value_kind:     by_value
      - .offset:         40
        .size:           8
        .value_kind:     by_value
      - .offset:         48
        .size:           8
        .value_kind:     by_value
      - .actual_access:  read_only
        .address_space:  global
        .offset:         56
        .size:           8
        .value_kind:     global_buffer
      - .offset:         64
        .size:           8
        .value_kind:     by_value
      - .actual_access:  read_only
        .address_space:  global
        .offset:         72
        .size:           8
        .value_kind:     global_buffer
      - .offset:         80
        .size:           8
        .value_kind:     by_value
      - .offset:         88
        .size:           8
        .value_kind:     by_value
      - .address_space:  global
        .offset:         96
        .size:           8
        .value_kind:     global_buffer
      - .actual_access:  read_only
        .address_space:  global
        .offset:         104
        .size:           8
        .value_kind:     global_buffer
      - .actual_access:  read_only
        .address_space:  global
        .offset:         112
        .size:           8
        .value_kind:     global_buffer
      - .offset:         120
        .size:           4
        .value_kind:     by_value
      - .offset:         124
        .size:           1
        .value_kind:     by_value
    .group_segment_fixed_size: 2048
    .kernarg_segment_align: 8
    .kernarg_segment_size: 128
    .language:       OpenCL C
    .language_version:
      - 2
      - 0
    .max_flat_workgroup_size: 512
    .name:           _ZN9rocsparseL17sddmm_coox_kernelILi512ELi4ELb0EfllDF16_DF16_fEEv20rocsparse_operation_S1_16rocsparse_order_S2_T4_S3_S3_T3_NS_24const_host_device_scalarIT2_EEPKT5_lPKT6_lS7_PT7_PKS4_SH_21rocsparse_index_base_b
    .private_segment_fixed_size: 0
    .sgpr_count:     32
    .sgpr_spill_count: 0
    .symbol:         _ZN9rocsparseL17sddmm_coox_kernelILi512ELi4ELb0EfllDF16_DF16_fEEv20rocsparse_operation_S1_16rocsparse_order_S2_T4_S3_S3_T3_NS_24const_host_device_scalarIT2_EEPKT5_lPKT6_lS7_PT7_PKS4_SH_21rocsparse_index_base_b.kd
    .uniform_work_group_size: 1
    .uses_dynamic_stack: false
    .vgpr_count:     15
    .vgpr_spill_count: 0
    .wavefront_size: 64
  - .agpr_count:     0
    .args:
      - .offset:         0
        .size:           4
        .value_kind:     by_value
      - .offset:         4
        .size:           4
        .value_kind:     by_value
      - .offset:         8
        .size:           4
        .value_kind:     by_value
      - .offset:         12
        .size:           4
        .value_kind:     by_value
      - .offset:         16
        .size:           8
        .value_kind:     by_value
      - .offset:         24
        .size:           8
        .value_kind:     by_value
      - .offset:         32
        .size:           8
        .value_kind:     by_value
      - .offset:         40
        .size:           8
        .value_kind:     by_value
      - .offset:         48
        .size:           8
        .value_kind:     by_value
      - .actual_access:  read_only
        .address_space:  global
        .offset:         56
        .size:           8
        .value_kind:     global_buffer
      - .offset:         64
        .size:           8
        .value_kind:     by_value
      - .actual_access:  read_only
        .address_space:  global
        .offset:         72
        .size:           8
        .value_kind:     global_buffer
      - .offset:         80
        .size:           8
        .value_kind:     by_value
      - .offset:         88
        .size:           8
        .value_kind:     by_value
      - .address_space:  global
        .offset:         96
        .size:           8
        .value_kind:     global_buffer
      - .actual_access:  read_only
        .address_space:  global
        .offset:         104
        .size:           8
        .value_kind:     global_buffer
      - .actual_access:  read_only
        .address_space:  global
        .offset:         112
        .size:           8
        .value_kind:     global_buffer
      - .offset:         120
        .size:           4
        .value_kind:     by_value
      - .offset:         124
        .size:           1
        .value_kind:     by_value
    .group_segment_fixed_size: 2048
    .kernarg_segment_align: 8
    .kernarg_segment_size: 128
    .language:       OpenCL C
    .language_version:
      - 2
      - 0
    .max_flat_workgroup_size: 512
    .name:           _ZN9rocsparseL17sddmm_coox_kernelILi512ELi2ELb0EfllDF16_DF16_fEEv20rocsparse_operation_S1_16rocsparse_order_S2_T4_S3_S3_T3_NS_24const_host_device_scalarIT2_EEPKT5_lPKT6_lS7_PT7_PKS4_SH_21rocsparse_index_base_b
    .private_segment_fixed_size: 0
    .sgpr_count:     32
    .sgpr_spill_count: 0
    .symbol:         _ZN9rocsparseL17sddmm_coox_kernelILi512ELi2ELb0EfllDF16_DF16_fEEv20rocsparse_operation_S1_16rocsparse_order_S2_T4_S3_S3_T3_NS_24const_host_device_scalarIT2_EEPKT5_lPKT6_lS7_PT7_PKS4_SH_21rocsparse_index_base_b.kd
    .uniform_work_group_size: 1
    .uses_dynamic_stack: false
    .vgpr_count:     15
    .vgpr_spill_count: 0
    .wavefront_size: 64
  - .agpr_count:     0
    .args:
      - .offset:         0
        .size:           4
        .value_kind:     by_value
      - .offset:         4
        .size:           4
        .value_kind:     by_value
      - .offset:         8
        .size:           4
        .value_kind:     by_value
      - .offset:         12
        .size:           4
        .value_kind:     by_value
      - .offset:         16
        .size:           8
        .value_kind:     by_value
      - .offset:         24
        .size:           8
        .value_kind:     by_value
      - .offset:         32
        .size:           8
        .value_kind:     by_value
      - .offset:         40
        .size:           8
        .value_kind:     by_value
      - .offset:         48
        .size:           8
        .value_kind:     by_value
      - .actual_access:  read_only
        .address_space:  global
        .offset:         56
        .size:           8
        .value_kind:     global_buffer
      - .offset:         64
        .size:           8
        .value_kind:     by_value
      - .actual_access:  read_only
        .address_space:  global
        .offset:         72
        .size:           8
        .value_kind:     global_buffer
      - .offset:         80
        .size:           8
        .value_kind:     by_value
      - .offset:         88
        .size:           8
        .value_kind:     by_value
      - .address_space:  global
        .offset:         96
        .size:           8
        .value_kind:     global_buffer
      - .actual_access:  read_only
        .address_space:  global
        .offset:         104
        .size:           8
        .value_kind:     global_buffer
      - .actual_access:  read_only
        .address_space:  global
        .offset:         112
        .size:           8
        .value_kind:     global_buffer
      - .offset:         120
        .size:           4
        .value_kind:     by_value
      - .offset:         124
        .size:           1
        .value_kind:     by_value
    .group_segment_fixed_size: 2048
    .kernarg_segment_align: 8
    .kernarg_segment_size: 128
    .language:       OpenCL C
    .language_version:
      - 2
      - 0
    .max_flat_workgroup_size: 512
    .name:           _ZN9rocsparseL17sddmm_coox_kernelILi512ELi1ELb0EfllDF16_DF16_fEEv20rocsparse_operation_S1_16rocsparse_order_S2_T4_S3_S3_T3_NS_24const_host_device_scalarIT2_EEPKT5_lPKT6_lS7_PT7_PKS4_SH_21rocsparse_index_base_b
    .private_segment_fixed_size: 0
    .sgpr_count:     30
    .sgpr_spill_count: 0
    .symbol:         _ZN9rocsparseL17sddmm_coox_kernelILi512ELi1ELb0EfllDF16_DF16_fEEv20rocsparse_operation_S1_16rocsparse_order_S2_T4_S3_S3_T3_NS_24const_host_device_scalarIT2_EEPKT5_lPKT6_lS7_PT7_PKS4_SH_21rocsparse_index_base_b.kd
    .uniform_work_group_size: 1
    .uses_dynamic_stack: false
    .vgpr_count:     12
    .vgpr_spill_count: 0
    .wavefront_size: 64
amdhsa.target:   amdgcn-amd-amdhsa--gfx90a
amdhsa.version:
  - 1
  - 2
...

	.end_amdgpu_metadata
